;; amdgpu-corpus repo=ROCm/rocThrust kind=compiled arch=gfx1030 opt=O3
	.amdgcn_target "amdgcn-amd-amdhsa--gfx1030"
	.amdhsa_code_object_version 6
	.section	.text._ZN6thrust23THRUST_200600_302600_NS11hip_rocprim14__parallel_for6kernelILj256ENS1_20__uninitialized_fill7functorINS0_10device_ptrIiEEiEEmLj1EEEvT0_T1_SA_,"axG",@progbits,_ZN6thrust23THRUST_200600_302600_NS11hip_rocprim14__parallel_for6kernelILj256ENS1_20__uninitialized_fill7functorINS0_10device_ptrIiEEiEEmLj1EEEvT0_T1_SA_,comdat
	.protected	_ZN6thrust23THRUST_200600_302600_NS11hip_rocprim14__parallel_for6kernelILj256ENS1_20__uninitialized_fill7functorINS0_10device_ptrIiEEiEEmLj1EEEvT0_T1_SA_ ; -- Begin function _ZN6thrust23THRUST_200600_302600_NS11hip_rocprim14__parallel_for6kernelILj256ENS1_20__uninitialized_fill7functorINS0_10device_ptrIiEEiEEmLj1EEEvT0_T1_SA_
	.globl	_ZN6thrust23THRUST_200600_302600_NS11hip_rocprim14__parallel_for6kernelILj256ENS1_20__uninitialized_fill7functorINS0_10device_ptrIiEEiEEmLj1EEEvT0_T1_SA_
	.p2align	8
	.type	_ZN6thrust23THRUST_200600_302600_NS11hip_rocprim14__parallel_for6kernelILj256ENS1_20__uninitialized_fill7functorINS0_10device_ptrIiEEiEEmLj1EEEvT0_T1_SA_,@function
_ZN6thrust23THRUST_200600_302600_NS11hip_rocprim14__parallel_for6kernelILj256ENS1_20__uninitialized_fill7functorINS0_10device_ptrIiEEiEEmLj1EEEvT0_T1_SA_: ; @_ZN6thrust23THRUST_200600_302600_NS11hip_rocprim14__parallel_for6kernelILj256ENS1_20__uninitialized_fill7functorINS0_10device_ptrIiEEiEEmLj1EEEvT0_T1_SA_
; %bb.0:
	s_clause 0x2
	s_load_dwordx4 s[8:11], s[4:5], 0x10
	s_load_dwordx2 s[0:1], s[4:5], 0x0
	s_load_dword s7, s[4:5], 0x8
	s_lshl_b32 s2, s6, 8
	s_waitcnt lgkmcnt(0)
	s_add_u32 s2, s10, s2
	s_addc_u32 s3, s11, 0
	s_sub_u32 s4, s8, s2
	s_subb_u32 s5, s9, s3
	v_cmp_lt_u64_e64 s5, 0xff, s[4:5]
	s_and_b32 vcc_lo, exec_lo, s5
	s_mov_b32 s5, -1
	s_cbranch_vccz .LBB0_3
; %bb.1:
	s_andn2_b32 vcc_lo, exec_lo, s5
	s_cbranch_vccz .LBB0_6
.LBB0_2:
	s_endpgm
.LBB0_3:
	v_cmp_gt_u32_e32 vcc_lo, s4, v0
	s_and_saveexec_b32 s4, vcc_lo
	s_cbranch_execz .LBB0_5
; %bb.4:
	v_lshlrev_b32_e32 v1, 2, v0
	s_lshl_b64 s[8:9], s[2:3], 2
	v_mov_b32_e32 v3, s7
	s_add_u32 s5, s0, s8
	s_addc_u32 s6, s1, s9
	v_add_co_u32 v1, s5, s5, v1
	v_add_co_ci_u32_e64 v2, null, s6, 0, s5
	flat_store_dword v[1:2], v3
.LBB0_5:
	s_or_b32 exec_lo, exec_lo, s4
	s_cbranch_execnz .LBB0_2
.LBB0_6:
	v_lshlrev_b32_e32 v0, 2, v0
	s_lshl_b64 s[2:3], s[2:3], 2
	v_mov_b32_e32 v2, s7
	s_add_u32 s0, s0, s2
	s_addc_u32 s1, s1, s3
	v_add_co_u32 v0, s0, s0, v0
	v_add_co_ci_u32_e64 v1, null, s1, 0, s0
	flat_store_dword v[0:1], v2
	s_endpgm
	.section	.rodata,"a",@progbits
	.p2align	6, 0x0
	.amdhsa_kernel _ZN6thrust23THRUST_200600_302600_NS11hip_rocprim14__parallel_for6kernelILj256ENS1_20__uninitialized_fill7functorINS0_10device_ptrIiEEiEEmLj1EEEvT0_T1_SA_
		.amdhsa_group_segment_fixed_size 0
		.amdhsa_private_segment_fixed_size 0
		.amdhsa_kernarg_size 32
		.amdhsa_user_sgpr_count 6
		.amdhsa_user_sgpr_private_segment_buffer 1
		.amdhsa_user_sgpr_dispatch_ptr 0
		.amdhsa_user_sgpr_queue_ptr 0
		.amdhsa_user_sgpr_kernarg_segment_ptr 1
		.amdhsa_user_sgpr_dispatch_id 0
		.amdhsa_user_sgpr_flat_scratch_init 0
		.amdhsa_user_sgpr_private_segment_size 0
		.amdhsa_wavefront_size32 1
		.amdhsa_uses_dynamic_stack 0
		.amdhsa_system_sgpr_private_segment_wavefront_offset 0
		.amdhsa_system_sgpr_workgroup_id_x 1
		.amdhsa_system_sgpr_workgroup_id_y 0
		.amdhsa_system_sgpr_workgroup_id_z 0
		.amdhsa_system_sgpr_workgroup_info 0
		.amdhsa_system_vgpr_workitem_id 0
		.amdhsa_next_free_vgpr 4
		.amdhsa_next_free_sgpr 12
		.amdhsa_reserve_vcc 1
		.amdhsa_reserve_flat_scratch 0
		.amdhsa_float_round_mode_32 0
		.amdhsa_float_round_mode_16_64 0
		.amdhsa_float_denorm_mode_32 3
		.amdhsa_float_denorm_mode_16_64 3
		.amdhsa_dx10_clamp 1
		.amdhsa_ieee_mode 1
		.amdhsa_fp16_overflow 0
		.amdhsa_workgroup_processor_mode 1
		.amdhsa_memory_ordered 1
		.amdhsa_forward_progress 1
		.amdhsa_shared_vgpr_count 0
		.amdhsa_exception_fp_ieee_invalid_op 0
		.amdhsa_exception_fp_denorm_src 0
		.amdhsa_exception_fp_ieee_div_zero 0
		.amdhsa_exception_fp_ieee_overflow 0
		.amdhsa_exception_fp_ieee_underflow 0
		.amdhsa_exception_fp_ieee_inexact 0
		.amdhsa_exception_int_div_zero 0
	.end_amdhsa_kernel
	.section	.text._ZN6thrust23THRUST_200600_302600_NS11hip_rocprim14__parallel_for6kernelILj256ENS1_20__uninitialized_fill7functorINS0_10device_ptrIiEEiEEmLj1EEEvT0_T1_SA_,"axG",@progbits,_ZN6thrust23THRUST_200600_302600_NS11hip_rocprim14__parallel_for6kernelILj256ENS1_20__uninitialized_fill7functorINS0_10device_ptrIiEEiEEmLj1EEEvT0_T1_SA_,comdat
.Lfunc_end0:
	.size	_ZN6thrust23THRUST_200600_302600_NS11hip_rocprim14__parallel_for6kernelILj256ENS1_20__uninitialized_fill7functorINS0_10device_ptrIiEEiEEmLj1EEEvT0_T1_SA_, .Lfunc_end0-_ZN6thrust23THRUST_200600_302600_NS11hip_rocprim14__parallel_for6kernelILj256ENS1_20__uninitialized_fill7functorINS0_10device_ptrIiEEiEEmLj1EEEvT0_T1_SA_
                                        ; -- End function
	.set _ZN6thrust23THRUST_200600_302600_NS11hip_rocprim14__parallel_for6kernelILj256ENS1_20__uninitialized_fill7functorINS0_10device_ptrIiEEiEEmLj1EEEvT0_T1_SA_.num_vgpr, 4
	.set _ZN6thrust23THRUST_200600_302600_NS11hip_rocprim14__parallel_for6kernelILj256ENS1_20__uninitialized_fill7functorINS0_10device_ptrIiEEiEEmLj1EEEvT0_T1_SA_.num_agpr, 0
	.set _ZN6thrust23THRUST_200600_302600_NS11hip_rocprim14__parallel_for6kernelILj256ENS1_20__uninitialized_fill7functorINS0_10device_ptrIiEEiEEmLj1EEEvT0_T1_SA_.numbered_sgpr, 12
	.set _ZN6thrust23THRUST_200600_302600_NS11hip_rocprim14__parallel_for6kernelILj256ENS1_20__uninitialized_fill7functorINS0_10device_ptrIiEEiEEmLj1EEEvT0_T1_SA_.num_named_barrier, 0
	.set _ZN6thrust23THRUST_200600_302600_NS11hip_rocprim14__parallel_for6kernelILj256ENS1_20__uninitialized_fill7functorINS0_10device_ptrIiEEiEEmLj1EEEvT0_T1_SA_.private_seg_size, 0
	.set _ZN6thrust23THRUST_200600_302600_NS11hip_rocprim14__parallel_for6kernelILj256ENS1_20__uninitialized_fill7functorINS0_10device_ptrIiEEiEEmLj1EEEvT0_T1_SA_.uses_vcc, 1
	.set _ZN6thrust23THRUST_200600_302600_NS11hip_rocprim14__parallel_for6kernelILj256ENS1_20__uninitialized_fill7functorINS0_10device_ptrIiEEiEEmLj1EEEvT0_T1_SA_.uses_flat_scratch, 0
	.set _ZN6thrust23THRUST_200600_302600_NS11hip_rocprim14__parallel_for6kernelILj256ENS1_20__uninitialized_fill7functorINS0_10device_ptrIiEEiEEmLj1EEEvT0_T1_SA_.has_dyn_sized_stack, 0
	.set _ZN6thrust23THRUST_200600_302600_NS11hip_rocprim14__parallel_for6kernelILj256ENS1_20__uninitialized_fill7functorINS0_10device_ptrIiEEiEEmLj1EEEvT0_T1_SA_.has_recursion, 0
	.set _ZN6thrust23THRUST_200600_302600_NS11hip_rocprim14__parallel_for6kernelILj256ENS1_20__uninitialized_fill7functorINS0_10device_ptrIiEEiEEmLj1EEEvT0_T1_SA_.has_indirect_call, 0
	.section	.AMDGPU.csdata,"",@progbits
; Kernel info:
; codeLenInByte = 200
; TotalNumSgprs: 14
; NumVgprs: 4
; ScratchSize: 0
; MemoryBound: 0
; FloatMode: 240
; IeeeMode: 1
; LDSByteSize: 0 bytes/workgroup (compile time only)
; SGPRBlocks: 0
; VGPRBlocks: 0
; NumSGPRsForWavesPerEU: 14
; NumVGPRsForWavesPerEU: 4
; Occupancy: 16
; WaveLimiterHint : 0
; COMPUTE_PGM_RSRC2:SCRATCH_EN: 0
; COMPUTE_PGM_RSRC2:USER_SGPR: 6
; COMPUTE_PGM_RSRC2:TRAP_HANDLER: 0
; COMPUTE_PGM_RSRC2:TGID_X_EN: 1
; COMPUTE_PGM_RSRC2:TGID_Y_EN: 0
; COMPUTE_PGM_RSRC2:TGID_Z_EN: 0
; COMPUTE_PGM_RSRC2:TIDIG_COMP_CNT: 0
	.section	.text._ZN7rocprim17ROCPRIM_400000_NS6detail17trampoline_kernelINS0_14default_configENS1_25transform_config_selectorImLb0EEEZNS1_14transform_implILb0ES3_S5_NS0_17constant_iteratorImlEEPmNS0_8identityImEEEE10hipError_tT2_T3_mT4_P12ihipStream_tbEUlT_E_NS1_11comp_targetILNS1_3genE0ELNS1_11target_archE4294967295ELNS1_3gpuE0ELNS1_3repE0EEENS1_30default_config_static_selectorELNS0_4arch9wavefront6targetE0EEEvT1_,"axG",@progbits,_ZN7rocprim17ROCPRIM_400000_NS6detail17trampoline_kernelINS0_14default_configENS1_25transform_config_selectorImLb0EEEZNS1_14transform_implILb0ES3_S5_NS0_17constant_iteratorImlEEPmNS0_8identityImEEEE10hipError_tT2_T3_mT4_P12ihipStream_tbEUlT_E_NS1_11comp_targetILNS1_3genE0ELNS1_11target_archE4294967295ELNS1_3gpuE0ELNS1_3repE0EEENS1_30default_config_static_selectorELNS0_4arch9wavefront6targetE0EEEvT1_,comdat
	.protected	_ZN7rocprim17ROCPRIM_400000_NS6detail17trampoline_kernelINS0_14default_configENS1_25transform_config_selectorImLb0EEEZNS1_14transform_implILb0ES3_S5_NS0_17constant_iteratorImlEEPmNS0_8identityImEEEE10hipError_tT2_T3_mT4_P12ihipStream_tbEUlT_E_NS1_11comp_targetILNS1_3genE0ELNS1_11target_archE4294967295ELNS1_3gpuE0ELNS1_3repE0EEENS1_30default_config_static_selectorELNS0_4arch9wavefront6targetE0EEEvT1_ ; -- Begin function _ZN7rocprim17ROCPRIM_400000_NS6detail17trampoline_kernelINS0_14default_configENS1_25transform_config_selectorImLb0EEEZNS1_14transform_implILb0ES3_S5_NS0_17constant_iteratorImlEEPmNS0_8identityImEEEE10hipError_tT2_T3_mT4_P12ihipStream_tbEUlT_E_NS1_11comp_targetILNS1_3genE0ELNS1_11target_archE4294967295ELNS1_3gpuE0ELNS1_3repE0EEENS1_30default_config_static_selectorELNS0_4arch9wavefront6targetE0EEEvT1_
	.globl	_ZN7rocprim17ROCPRIM_400000_NS6detail17trampoline_kernelINS0_14default_configENS1_25transform_config_selectorImLb0EEEZNS1_14transform_implILb0ES3_S5_NS0_17constant_iteratorImlEEPmNS0_8identityImEEEE10hipError_tT2_T3_mT4_P12ihipStream_tbEUlT_E_NS1_11comp_targetILNS1_3genE0ELNS1_11target_archE4294967295ELNS1_3gpuE0ELNS1_3repE0EEENS1_30default_config_static_selectorELNS0_4arch9wavefront6targetE0EEEvT1_
	.p2align	8
	.type	_ZN7rocprim17ROCPRIM_400000_NS6detail17trampoline_kernelINS0_14default_configENS1_25transform_config_selectorImLb0EEEZNS1_14transform_implILb0ES3_S5_NS0_17constant_iteratorImlEEPmNS0_8identityImEEEE10hipError_tT2_T3_mT4_P12ihipStream_tbEUlT_E_NS1_11comp_targetILNS1_3genE0ELNS1_11target_archE4294967295ELNS1_3gpuE0ELNS1_3repE0EEENS1_30default_config_static_selectorELNS0_4arch9wavefront6targetE0EEEvT1_,@function
_ZN7rocprim17ROCPRIM_400000_NS6detail17trampoline_kernelINS0_14default_configENS1_25transform_config_selectorImLb0EEEZNS1_14transform_implILb0ES3_S5_NS0_17constant_iteratorImlEEPmNS0_8identityImEEEE10hipError_tT2_T3_mT4_P12ihipStream_tbEUlT_E_NS1_11comp_targetILNS1_3genE0ELNS1_11target_archE4294967295ELNS1_3gpuE0ELNS1_3repE0EEENS1_30default_config_static_selectorELNS0_4arch9wavefront6targetE0EEEvT1_: ; @_ZN7rocprim17ROCPRIM_400000_NS6detail17trampoline_kernelINS0_14default_configENS1_25transform_config_selectorImLb0EEEZNS1_14transform_implILb0ES3_S5_NS0_17constant_iteratorImlEEPmNS0_8identityImEEEE10hipError_tT2_T3_mT4_P12ihipStream_tbEUlT_E_NS1_11comp_targetILNS1_3genE0ELNS1_11target_archE4294967295ELNS1_3gpuE0ELNS1_3repE0EEENS1_30default_config_static_selectorELNS0_4arch9wavefront6targetE0EEEvT1_
; %bb.0:
	.section	.rodata,"a",@progbits
	.p2align	6, 0x0
	.amdhsa_kernel _ZN7rocprim17ROCPRIM_400000_NS6detail17trampoline_kernelINS0_14default_configENS1_25transform_config_selectorImLb0EEEZNS1_14transform_implILb0ES3_S5_NS0_17constant_iteratorImlEEPmNS0_8identityImEEEE10hipError_tT2_T3_mT4_P12ihipStream_tbEUlT_E_NS1_11comp_targetILNS1_3genE0ELNS1_11target_archE4294967295ELNS1_3gpuE0ELNS1_3repE0EEENS1_30default_config_static_selectorELNS0_4arch9wavefront6targetE0EEEvT1_
		.amdhsa_group_segment_fixed_size 0
		.amdhsa_private_segment_fixed_size 0
		.amdhsa_kernarg_size 48
		.amdhsa_user_sgpr_count 6
		.amdhsa_user_sgpr_private_segment_buffer 1
		.amdhsa_user_sgpr_dispatch_ptr 0
		.amdhsa_user_sgpr_queue_ptr 0
		.amdhsa_user_sgpr_kernarg_segment_ptr 1
		.amdhsa_user_sgpr_dispatch_id 0
		.amdhsa_user_sgpr_flat_scratch_init 0
		.amdhsa_user_sgpr_private_segment_size 0
		.amdhsa_wavefront_size32 1
		.amdhsa_uses_dynamic_stack 0
		.amdhsa_system_sgpr_private_segment_wavefront_offset 0
		.amdhsa_system_sgpr_workgroup_id_x 1
		.amdhsa_system_sgpr_workgroup_id_y 0
		.amdhsa_system_sgpr_workgroup_id_z 0
		.amdhsa_system_sgpr_workgroup_info 0
		.amdhsa_system_vgpr_workitem_id 0
		.amdhsa_next_free_vgpr 1
		.amdhsa_next_free_sgpr 1
		.amdhsa_reserve_vcc 0
		.amdhsa_reserve_flat_scratch 0
		.amdhsa_float_round_mode_32 0
		.amdhsa_float_round_mode_16_64 0
		.amdhsa_float_denorm_mode_32 3
		.amdhsa_float_denorm_mode_16_64 3
		.amdhsa_dx10_clamp 1
		.amdhsa_ieee_mode 1
		.amdhsa_fp16_overflow 0
		.amdhsa_workgroup_processor_mode 1
		.amdhsa_memory_ordered 1
		.amdhsa_forward_progress 1
		.amdhsa_shared_vgpr_count 0
		.amdhsa_exception_fp_ieee_invalid_op 0
		.amdhsa_exception_fp_denorm_src 0
		.amdhsa_exception_fp_ieee_div_zero 0
		.amdhsa_exception_fp_ieee_overflow 0
		.amdhsa_exception_fp_ieee_underflow 0
		.amdhsa_exception_fp_ieee_inexact 0
		.amdhsa_exception_int_div_zero 0
	.end_amdhsa_kernel
	.section	.text._ZN7rocprim17ROCPRIM_400000_NS6detail17trampoline_kernelINS0_14default_configENS1_25transform_config_selectorImLb0EEEZNS1_14transform_implILb0ES3_S5_NS0_17constant_iteratorImlEEPmNS0_8identityImEEEE10hipError_tT2_T3_mT4_P12ihipStream_tbEUlT_E_NS1_11comp_targetILNS1_3genE0ELNS1_11target_archE4294967295ELNS1_3gpuE0ELNS1_3repE0EEENS1_30default_config_static_selectorELNS0_4arch9wavefront6targetE0EEEvT1_,"axG",@progbits,_ZN7rocprim17ROCPRIM_400000_NS6detail17trampoline_kernelINS0_14default_configENS1_25transform_config_selectorImLb0EEEZNS1_14transform_implILb0ES3_S5_NS0_17constant_iteratorImlEEPmNS0_8identityImEEEE10hipError_tT2_T3_mT4_P12ihipStream_tbEUlT_E_NS1_11comp_targetILNS1_3genE0ELNS1_11target_archE4294967295ELNS1_3gpuE0ELNS1_3repE0EEENS1_30default_config_static_selectorELNS0_4arch9wavefront6targetE0EEEvT1_,comdat
.Lfunc_end1:
	.size	_ZN7rocprim17ROCPRIM_400000_NS6detail17trampoline_kernelINS0_14default_configENS1_25transform_config_selectorImLb0EEEZNS1_14transform_implILb0ES3_S5_NS0_17constant_iteratorImlEEPmNS0_8identityImEEEE10hipError_tT2_T3_mT4_P12ihipStream_tbEUlT_E_NS1_11comp_targetILNS1_3genE0ELNS1_11target_archE4294967295ELNS1_3gpuE0ELNS1_3repE0EEENS1_30default_config_static_selectorELNS0_4arch9wavefront6targetE0EEEvT1_, .Lfunc_end1-_ZN7rocprim17ROCPRIM_400000_NS6detail17trampoline_kernelINS0_14default_configENS1_25transform_config_selectorImLb0EEEZNS1_14transform_implILb0ES3_S5_NS0_17constant_iteratorImlEEPmNS0_8identityImEEEE10hipError_tT2_T3_mT4_P12ihipStream_tbEUlT_E_NS1_11comp_targetILNS1_3genE0ELNS1_11target_archE4294967295ELNS1_3gpuE0ELNS1_3repE0EEENS1_30default_config_static_selectorELNS0_4arch9wavefront6targetE0EEEvT1_
                                        ; -- End function
	.set _ZN7rocprim17ROCPRIM_400000_NS6detail17trampoline_kernelINS0_14default_configENS1_25transform_config_selectorImLb0EEEZNS1_14transform_implILb0ES3_S5_NS0_17constant_iteratorImlEEPmNS0_8identityImEEEE10hipError_tT2_T3_mT4_P12ihipStream_tbEUlT_E_NS1_11comp_targetILNS1_3genE0ELNS1_11target_archE4294967295ELNS1_3gpuE0ELNS1_3repE0EEENS1_30default_config_static_selectorELNS0_4arch9wavefront6targetE0EEEvT1_.num_vgpr, 0
	.set _ZN7rocprim17ROCPRIM_400000_NS6detail17trampoline_kernelINS0_14default_configENS1_25transform_config_selectorImLb0EEEZNS1_14transform_implILb0ES3_S5_NS0_17constant_iteratorImlEEPmNS0_8identityImEEEE10hipError_tT2_T3_mT4_P12ihipStream_tbEUlT_E_NS1_11comp_targetILNS1_3genE0ELNS1_11target_archE4294967295ELNS1_3gpuE0ELNS1_3repE0EEENS1_30default_config_static_selectorELNS0_4arch9wavefront6targetE0EEEvT1_.num_agpr, 0
	.set _ZN7rocprim17ROCPRIM_400000_NS6detail17trampoline_kernelINS0_14default_configENS1_25transform_config_selectorImLb0EEEZNS1_14transform_implILb0ES3_S5_NS0_17constant_iteratorImlEEPmNS0_8identityImEEEE10hipError_tT2_T3_mT4_P12ihipStream_tbEUlT_E_NS1_11comp_targetILNS1_3genE0ELNS1_11target_archE4294967295ELNS1_3gpuE0ELNS1_3repE0EEENS1_30default_config_static_selectorELNS0_4arch9wavefront6targetE0EEEvT1_.numbered_sgpr, 0
	.set _ZN7rocprim17ROCPRIM_400000_NS6detail17trampoline_kernelINS0_14default_configENS1_25transform_config_selectorImLb0EEEZNS1_14transform_implILb0ES3_S5_NS0_17constant_iteratorImlEEPmNS0_8identityImEEEE10hipError_tT2_T3_mT4_P12ihipStream_tbEUlT_E_NS1_11comp_targetILNS1_3genE0ELNS1_11target_archE4294967295ELNS1_3gpuE0ELNS1_3repE0EEENS1_30default_config_static_selectorELNS0_4arch9wavefront6targetE0EEEvT1_.num_named_barrier, 0
	.set _ZN7rocprim17ROCPRIM_400000_NS6detail17trampoline_kernelINS0_14default_configENS1_25transform_config_selectorImLb0EEEZNS1_14transform_implILb0ES3_S5_NS0_17constant_iteratorImlEEPmNS0_8identityImEEEE10hipError_tT2_T3_mT4_P12ihipStream_tbEUlT_E_NS1_11comp_targetILNS1_3genE0ELNS1_11target_archE4294967295ELNS1_3gpuE0ELNS1_3repE0EEENS1_30default_config_static_selectorELNS0_4arch9wavefront6targetE0EEEvT1_.private_seg_size, 0
	.set _ZN7rocprim17ROCPRIM_400000_NS6detail17trampoline_kernelINS0_14default_configENS1_25transform_config_selectorImLb0EEEZNS1_14transform_implILb0ES3_S5_NS0_17constant_iteratorImlEEPmNS0_8identityImEEEE10hipError_tT2_T3_mT4_P12ihipStream_tbEUlT_E_NS1_11comp_targetILNS1_3genE0ELNS1_11target_archE4294967295ELNS1_3gpuE0ELNS1_3repE0EEENS1_30default_config_static_selectorELNS0_4arch9wavefront6targetE0EEEvT1_.uses_vcc, 0
	.set _ZN7rocprim17ROCPRIM_400000_NS6detail17trampoline_kernelINS0_14default_configENS1_25transform_config_selectorImLb0EEEZNS1_14transform_implILb0ES3_S5_NS0_17constant_iteratorImlEEPmNS0_8identityImEEEE10hipError_tT2_T3_mT4_P12ihipStream_tbEUlT_E_NS1_11comp_targetILNS1_3genE0ELNS1_11target_archE4294967295ELNS1_3gpuE0ELNS1_3repE0EEENS1_30default_config_static_selectorELNS0_4arch9wavefront6targetE0EEEvT1_.uses_flat_scratch, 0
	.set _ZN7rocprim17ROCPRIM_400000_NS6detail17trampoline_kernelINS0_14default_configENS1_25transform_config_selectorImLb0EEEZNS1_14transform_implILb0ES3_S5_NS0_17constant_iteratorImlEEPmNS0_8identityImEEEE10hipError_tT2_T3_mT4_P12ihipStream_tbEUlT_E_NS1_11comp_targetILNS1_3genE0ELNS1_11target_archE4294967295ELNS1_3gpuE0ELNS1_3repE0EEENS1_30default_config_static_selectorELNS0_4arch9wavefront6targetE0EEEvT1_.has_dyn_sized_stack, 0
	.set _ZN7rocprim17ROCPRIM_400000_NS6detail17trampoline_kernelINS0_14default_configENS1_25transform_config_selectorImLb0EEEZNS1_14transform_implILb0ES3_S5_NS0_17constant_iteratorImlEEPmNS0_8identityImEEEE10hipError_tT2_T3_mT4_P12ihipStream_tbEUlT_E_NS1_11comp_targetILNS1_3genE0ELNS1_11target_archE4294967295ELNS1_3gpuE0ELNS1_3repE0EEENS1_30default_config_static_selectorELNS0_4arch9wavefront6targetE0EEEvT1_.has_recursion, 0
	.set _ZN7rocprim17ROCPRIM_400000_NS6detail17trampoline_kernelINS0_14default_configENS1_25transform_config_selectorImLb0EEEZNS1_14transform_implILb0ES3_S5_NS0_17constant_iteratorImlEEPmNS0_8identityImEEEE10hipError_tT2_T3_mT4_P12ihipStream_tbEUlT_E_NS1_11comp_targetILNS1_3genE0ELNS1_11target_archE4294967295ELNS1_3gpuE0ELNS1_3repE0EEENS1_30default_config_static_selectorELNS0_4arch9wavefront6targetE0EEEvT1_.has_indirect_call, 0
	.section	.AMDGPU.csdata,"",@progbits
; Kernel info:
; codeLenInByte = 0
; TotalNumSgprs: 0
; NumVgprs: 0
; ScratchSize: 0
; MemoryBound: 0
; FloatMode: 240
; IeeeMode: 1
; LDSByteSize: 0 bytes/workgroup (compile time only)
; SGPRBlocks: 0
; VGPRBlocks: 0
; NumSGPRsForWavesPerEU: 1
; NumVGPRsForWavesPerEU: 1
; Occupancy: 16
; WaveLimiterHint : 0
; COMPUTE_PGM_RSRC2:SCRATCH_EN: 0
; COMPUTE_PGM_RSRC2:USER_SGPR: 6
; COMPUTE_PGM_RSRC2:TRAP_HANDLER: 0
; COMPUTE_PGM_RSRC2:TGID_X_EN: 1
; COMPUTE_PGM_RSRC2:TGID_Y_EN: 0
; COMPUTE_PGM_RSRC2:TGID_Z_EN: 0
; COMPUTE_PGM_RSRC2:TIDIG_COMP_CNT: 0
	.section	.text._ZN7rocprim17ROCPRIM_400000_NS6detail17trampoline_kernelINS0_14default_configENS1_25transform_config_selectorImLb0EEEZNS1_14transform_implILb0ES3_S5_NS0_17constant_iteratorImlEEPmNS0_8identityImEEEE10hipError_tT2_T3_mT4_P12ihipStream_tbEUlT_E_NS1_11comp_targetILNS1_3genE5ELNS1_11target_archE942ELNS1_3gpuE9ELNS1_3repE0EEENS1_30default_config_static_selectorELNS0_4arch9wavefront6targetE0EEEvT1_,"axG",@progbits,_ZN7rocprim17ROCPRIM_400000_NS6detail17trampoline_kernelINS0_14default_configENS1_25transform_config_selectorImLb0EEEZNS1_14transform_implILb0ES3_S5_NS0_17constant_iteratorImlEEPmNS0_8identityImEEEE10hipError_tT2_T3_mT4_P12ihipStream_tbEUlT_E_NS1_11comp_targetILNS1_3genE5ELNS1_11target_archE942ELNS1_3gpuE9ELNS1_3repE0EEENS1_30default_config_static_selectorELNS0_4arch9wavefront6targetE0EEEvT1_,comdat
	.protected	_ZN7rocprim17ROCPRIM_400000_NS6detail17trampoline_kernelINS0_14default_configENS1_25transform_config_selectorImLb0EEEZNS1_14transform_implILb0ES3_S5_NS0_17constant_iteratorImlEEPmNS0_8identityImEEEE10hipError_tT2_T3_mT4_P12ihipStream_tbEUlT_E_NS1_11comp_targetILNS1_3genE5ELNS1_11target_archE942ELNS1_3gpuE9ELNS1_3repE0EEENS1_30default_config_static_selectorELNS0_4arch9wavefront6targetE0EEEvT1_ ; -- Begin function _ZN7rocprim17ROCPRIM_400000_NS6detail17trampoline_kernelINS0_14default_configENS1_25transform_config_selectorImLb0EEEZNS1_14transform_implILb0ES3_S5_NS0_17constant_iteratorImlEEPmNS0_8identityImEEEE10hipError_tT2_T3_mT4_P12ihipStream_tbEUlT_E_NS1_11comp_targetILNS1_3genE5ELNS1_11target_archE942ELNS1_3gpuE9ELNS1_3repE0EEENS1_30default_config_static_selectorELNS0_4arch9wavefront6targetE0EEEvT1_
	.globl	_ZN7rocprim17ROCPRIM_400000_NS6detail17trampoline_kernelINS0_14default_configENS1_25transform_config_selectorImLb0EEEZNS1_14transform_implILb0ES3_S5_NS0_17constant_iteratorImlEEPmNS0_8identityImEEEE10hipError_tT2_T3_mT4_P12ihipStream_tbEUlT_E_NS1_11comp_targetILNS1_3genE5ELNS1_11target_archE942ELNS1_3gpuE9ELNS1_3repE0EEENS1_30default_config_static_selectorELNS0_4arch9wavefront6targetE0EEEvT1_
	.p2align	8
	.type	_ZN7rocprim17ROCPRIM_400000_NS6detail17trampoline_kernelINS0_14default_configENS1_25transform_config_selectorImLb0EEEZNS1_14transform_implILb0ES3_S5_NS0_17constant_iteratorImlEEPmNS0_8identityImEEEE10hipError_tT2_T3_mT4_P12ihipStream_tbEUlT_E_NS1_11comp_targetILNS1_3genE5ELNS1_11target_archE942ELNS1_3gpuE9ELNS1_3repE0EEENS1_30default_config_static_selectorELNS0_4arch9wavefront6targetE0EEEvT1_,@function
_ZN7rocprim17ROCPRIM_400000_NS6detail17trampoline_kernelINS0_14default_configENS1_25transform_config_selectorImLb0EEEZNS1_14transform_implILb0ES3_S5_NS0_17constant_iteratorImlEEPmNS0_8identityImEEEE10hipError_tT2_T3_mT4_P12ihipStream_tbEUlT_E_NS1_11comp_targetILNS1_3genE5ELNS1_11target_archE942ELNS1_3gpuE9ELNS1_3repE0EEENS1_30default_config_static_selectorELNS0_4arch9wavefront6targetE0EEEvT1_: ; @_ZN7rocprim17ROCPRIM_400000_NS6detail17trampoline_kernelINS0_14default_configENS1_25transform_config_selectorImLb0EEEZNS1_14transform_implILb0ES3_S5_NS0_17constant_iteratorImlEEPmNS0_8identityImEEEE10hipError_tT2_T3_mT4_P12ihipStream_tbEUlT_E_NS1_11comp_targetILNS1_3genE5ELNS1_11target_archE942ELNS1_3gpuE9ELNS1_3repE0EEENS1_30default_config_static_selectorELNS0_4arch9wavefront6targetE0EEEvT1_
; %bb.0:
	.section	.rodata,"a",@progbits
	.p2align	6, 0x0
	.amdhsa_kernel _ZN7rocprim17ROCPRIM_400000_NS6detail17trampoline_kernelINS0_14default_configENS1_25transform_config_selectorImLb0EEEZNS1_14transform_implILb0ES3_S5_NS0_17constant_iteratorImlEEPmNS0_8identityImEEEE10hipError_tT2_T3_mT4_P12ihipStream_tbEUlT_E_NS1_11comp_targetILNS1_3genE5ELNS1_11target_archE942ELNS1_3gpuE9ELNS1_3repE0EEENS1_30default_config_static_selectorELNS0_4arch9wavefront6targetE0EEEvT1_
		.amdhsa_group_segment_fixed_size 0
		.amdhsa_private_segment_fixed_size 0
		.amdhsa_kernarg_size 48
		.amdhsa_user_sgpr_count 6
		.amdhsa_user_sgpr_private_segment_buffer 1
		.amdhsa_user_sgpr_dispatch_ptr 0
		.amdhsa_user_sgpr_queue_ptr 0
		.amdhsa_user_sgpr_kernarg_segment_ptr 1
		.amdhsa_user_sgpr_dispatch_id 0
		.amdhsa_user_sgpr_flat_scratch_init 0
		.amdhsa_user_sgpr_private_segment_size 0
		.amdhsa_wavefront_size32 1
		.amdhsa_uses_dynamic_stack 0
		.amdhsa_system_sgpr_private_segment_wavefront_offset 0
		.amdhsa_system_sgpr_workgroup_id_x 1
		.amdhsa_system_sgpr_workgroup_id_y 0
		.amdhsa_system_sgpr_workgroup_id_z 0
		.amdhsa_system_sgpr_workgroup_info 0
		.amdhsa_system_vgpr_workitem_id 0
		.amdhsa_next_free_vgpr 1
		.amdhsa_next_free_sgpr 1
		.amdhsa_reserve_vcc 0
		.amdhsa_reserve_flat_scratch 0
		.amdhsa_float_round_mode_32 0
		.amdhsa_float_round_mode_16_64 0
		.amdhsa_float_denorm_mode_32 3
		.amdhsa_float_denorm_mode_16_64 3
		.amdhsa_dx10_clamp 1
		.amdhsa_ieee_mode 1
		.amdhsa_fp16_overflow 0
		.amdhsa_workgroup_processor_mode 1
		.amdhsa_memory_ordered 1
		.amdhsa_forward_progress 1
		.amdhsa_shared_vgpr_count 0
		.amdhsa_exception_fp_ieee_invalid_op 0
		.amdhsa_exception_fp_denorm_src 0
		.amdhsa_exception_fp_ieee_div_zero 0
		.amdhsa_exception_fp_ieee_overflow 0
		.amdhsa_exception_fp_ieee_underflow 0
		.amdhsa_exception_fp_ieee_inexact 0
		.amdhsa_exception_int_div_zero 0
	.end_amdhsa_kernel
	.section	.text._ZN7rocprim17ROCPRIM_400000_NS6detail17trampoline_kernelINS0_14default_configENS1_25transform_config_selectorImLb0EEEZNS1_14transform_implILb0ES3_S5_NS0_17constant_iteratorImlEEPmNS0_8identityImEEEE10hipError_tT2_T3_mT4_P12ihipStream_tbEUlT_E_NS1_11comp_targetILNS1_3genE5ELNS1_11target_archE942ELNS1_3gpuE9ELNS1_3repE0EEENS1_30default_config_static_selectorELNS0_4arch9wavefront6targetE0EEEvT1_,"axG",@progbits,_ZN7rocprim17ROCPRIM_400000_NS6detail17trampoline_kernelINS0_14default_configENS1_25transform_config_selectorImLb0EEEZNS1_14transform_implILb0ES3_S5_NS0_17constant_iteratorImlEEPmNS0_8identityImEEEE10hipError_tT2_T3_mT4_P12ihipStream_tbEUlT_E_NS1_11comp_targetILNS1_3genE5ELNS1_11target_archE942ELNS1_3gpuE9ELNS1_3repE0EEENS1_30default_config_static_selectorELNS0_4arch9wavefront6targetE0EEEvT1_,comdat
.Lfunc_end2:
	.size	_ZN7rocprim17ROCPRIM_400000_NS6detail17trampoline_kernelINS0_14default_configENS1_25transform_config_selectorImLb0EEEZNS1_14transform_implILb0ES3_S5_NS0_17constant_iteratorImlEEPmNS0_8identityImEEEE10hipError_tT2_T3_mT4_P12ihipStream_tbEUlT_E_NS1_11comp_targetILNS1_3genE5ELNS1_11target_archE942ELNS1_3gpuE9ELNS1_3repE0EEENS1_30default_config_static_selectorELNS0_4arch9wavefront6targetE0EEEvT1_, .Lfunc_end2-_ZN7rocprim17ROCPRIM_400000_NS6detail17trampoline_kernelINS0_14default_configENS1_25transform_config_selectorImLb0EEEZNS1_14transform_implILb0ES3_S5_NS0_17constant_iteratorImlEEPmNS0_8identityImEEEE10hipError_tT2_T3_mT4_P12ihipStream_tbEUlT_E_NS1_11comp_targetILNS1_3genE5ELNS1_11target_archE942ELNS1_3gpuE9ELNS1_3repE0EEENS1_30default_config_static_selectorELNS0_4arch9wavefront6targetE0EEEvT1_
                                        ; -- End function
	.set _ZN7rocprim17ROCPRIM_400000_NS6detail17trampoline_kernelINS0_14default_configENS1_25transform_config_selectorImLb0EEEZNS1_14transform_implILb0ES3_S5_NS0_17constant_iteratorImlEEPmNS0_8identityImEEEE10hipError_tT2_T3_mT4_P12ihipStream_tbEUlT_E_NS1_11comp_targetILNS1_3genE5ELNS1_11target_archE942ELNS1_3gpuE9ELNS1_3repE0EEENS1_30default_config_static_selectorELNS0_4arch9wavefront6targetE0EEEvT1_.num_vgpr, 0
	.set _ZN7rocprim17ROCPRIM_400000_NS6detail17trampoline_kernelINS0_14default_configENS1_25transform_config_selectorImLb0EEEZNS1_14transform_implILb0ES3_S5_NS0_17constant_iteratorImlEEPmNS0_8identityImEEEE10hipError_tT2_T3_mT4_P12ihipStream_tbEUlT_E_NS1_11comp_targetILNS1_3genE5ELNS1_11target_archE942ELNS1_3gpuE9ELNS1_3repE0EEENS1_30default_config_static_selectorELNS0_4arch9wavefront6targetE0EEEvT1_.num_agpr, 0
	.set _ZN7rocprim17ROCPRIM_400000_NS6detail17trampoline_kernelINS0_14default_configENS1_25transform_config_selectorImLb0EEEZNS1_14transform_implILb0ES3_S5_NS0_17constant_iteratorImlEEPmNS0_8identityImEEEE10hipError_tT2_T3_mT4_P12ihipStream_tbEUlT_E_NS1_11comp_targetILNS1_3genE5ELNS1_11target_archE942ELNS1_3gpuE9ELNS1_3repE0EEENS1_30default_config_static_selectorELNS0_4arch9wavefront6targetE0EEEvT1_.numbered_sgpr, 0
	.set _ZN7rocprim17ROCPRIM_400000_NS6detail17trampoline_kernelINS0_14default_configENS1_25transform_config_selectorImLb0EEEZNS1_14transform_implILb0ES3_S5_NS0_17constant_iteratorImlEEPmNS0_8identityImEEEE10hipError_tT2_T3_mT4_P12ihipStream_tbEUlT_E_NS1_11comp_targetILNS1_3genE5ELNS1_11target_archE942ELNS1_3gpuE9ELNS1_3repE0EEENS1_30default_config_static_selectorELNS0_4arch9wavefront6targetE0EEEvT1_.num_named_barrier, 0
	.set _ZN7rocprim17ROCPRIM_400000_NS6detail17trampoline_kernelINS0_14default_configENS1_25transform_config_selectorImLb0EEEZNS1_14transform_implILb0ES3_S5_NS0_17constant_iteratorImlEEPmNS0_8identityImEEEE10hipError_tT2_T3_mT4_P12ihipStream_tbEUlT_E_NS1_11comp_targetILNS1_3genE5ELNS1_11target_archE942ELNS1_3gpuE9ELNS1_3repE0EEENS1_30default_config_static_selectorELNS0_4arch9wavefront6targetE0EEEvT1_.private_seg_size, 0
	.set _ZN7rocprim17ROCPRIM_400000_NS6detail17trampoline_kernelINS0_14default_configENS1_25transform_config_selectorImLb0EEEZNS1_14transform_implILb0ES3_S5_NS0_17constant_iteratorImlEEPmNS0_8identityImEEEE10hipError_tT2_T3_mT4_P12ihipStream_tbEUlT_E_NS1_11comp_targetILNS1_3genE5ELNS1_11target_archE942ELNS1_3gpuE9ELNS1_3repE0EEENS1_30default_config_static_selectorELNS0_4arch9wavefront6targetE0EEEvT1_.uses_vcc, 0
	.set _ZN7rocprim17ROCPRIM_400000_NS6detail17trampoline_kernelINS0_14default_configENS1_25transform_config_selectorImLb0EEEZNS1_14transform_implILb0ES3_S5_NS0_17constant_iteratorImlEEPmNS0_8identityImEEEE10hipError_tT2_T3_mT4_P12ihipStream_tbEUlT_E_NS1_11comp_targetILNS1_3genE5ELNS1_11target_archE942ELNS1_3gpuE9ELNS1_3repE0EEENS1_30default_config_static_selectorELNS0_4arch9wavefront6targetE0EEEvT1_.uses_flat_scratch, 0
	.set _ZN7rocprim17ROCPRIM_400000_NS6detail17trampoline_kernelINS0_14default_configENS1_25transform_config_selectorImLb0EEEZNS1_14transform_implILb0ES3_S5_NS0_17constant_iteratorImlEEPmNS0_8identityImEEEE10hipError_tT2_T3_mT4_P12ihipStream_tbEUlT_E_NS1_11comp_targetILNS1_3genE5ELNS1_11target_archE942ELNS1_3gpuE9ELNS1_3repE0EEENS1_30default_config_static_selectorELNS0_4arch9wavefront6targetE0EEEvT1_.has_dyn_sized_stack, 0
	.set _ZN7rocprim17ROCPRIM_400000_NS6detail17trampoline_kernelINS0_14default_configENS1_25transform_config_selectorImLb0EEEZNS1_14transform_implILb0ES3_S5_NS0_17constant_iteratorImlEEPmNS0_8identityImEEEE10hipError_tT2_T3_mT4_P12ihipStream_tbEUlT_E_NS1_11comp_targetILNS1_3genE5ELNS1_11target_archE942ELNS1_3gpuE9ELNS1_3repE0EEENS1_30default_config_static_selectorELNS0_4arch9wavefront6targetE0EEEvT1_.has_recursion, 0
	.set _ZN7rocprim17ROCPRIM_400000_NS6detail17trampoline_kernelINS0_14default_configENS1_25transform_config_selectorImLb0EEEZNS1_14transform_implILb0ES3_S5_NS0_17constant_iteratorImlEEPmNS0_8identityImEEEE10hipError_tT2_T3_mT4_P12ihipStream_tbEUlT_E_NS1_11comp_targetILNS1_3genE5ELNS1_11target_archE942ELNS1_3gpuE9ELNS1_3repE0EEENS1_30default_config_static_selectorELNS0_4arch9wavefront6targetE0EEEvT1_.has_indirect_call, 0
	.section	.AMDGPU.csdata,"",@progbits
; Kernel info:
; codeLenInByte = 0
; TotalNumSgprs: 0
; NumVgprs: 0
; ScratchSize: 0
; MemoryBound: 0
; FloatMode: 240
; IeeeMode: 1
; LDSByteSize: 0 bytes/workgroup (compile time only)
; SGPRBlocks: 0
; VGPRBlocks: 0
; NumSGPRsForWavesPerEU: 1
; NumVGPRsForWavesPerEU: 1
; Occupancy: 16
; WaveLimiterHint : 0
; COMPUTE_PGM_RSRC2:SCRATCH_EN: 0
; COMPUTE_PGM_RSRC2:USER_SGPR: 6
; COMPUTE_PGM_RSRC2:TRAP_HANDLER: 0
; COMPUTE_PGM_RSRC2:TGID_X_EN: 1
; COMPUTE_PGM_RSRC2:TGID_Y_EN: 0
; COMPUTE_PGM_RSRC2:TGID_Z_EN: 0
; COMPUTE_PGM_RSRC2:TIDIG_COMP_CNT: 0
	.section	.text._ZN7rocprim17ROCPRIM_400000_NS6detail17trampoline_kernelINS0_14default_configENS1_25transform_config_selectorImLb0EEEZNS1_14transform_implILb0ES3_S5_NS0_17constant_iteratorImlEEPmNS0_8identityImEEEE10hipError_tT2_T3_mT4_P12ihipStream_tbEUlT_E_NS1_11comp_targetILNS1_3genE4ELNS1_11target_archE910ELNS1_3gpuE8ELNS1_3repE0EEENS1_30default_config_static_selectorELNS0_4arch9wavefront6targetE0EEEvT1_,"axG",@progbits,_ZN7rocprim17ROCPRIM_400000_NS6detail17trampoline_kernelINS0_14default_configENS1_25transform_config_selectorImLb0EEEZNS1_14transform_implILb0ES3_S5_NS0_17constant_iteratorImlEEPmNS0_8identityImEEEE10hipError_tT2_T3_mT4_P12ihipStream_tbEUlT_E_NS1_11comp_targetILNS1_3genE4ELNS1_11target_archE910ELNS1_3gpuE8ELNS1_3repE0EEENS1_30default_config_static_selectorELNS0_4arch9wavefront6targetE0EEEvT1_,comdat
	.protected	_ZN7rocprim17ROCPRIM_400000_NS6detail17trampoline_kernelINS0_14default_configENS1_25transform_config_selectorImLb0EEEZNS1_14transform_implILb0ES3_S5_NS0_17constant_iteratorImlEEPmNS0_8identityImEEEE10hipError_tT2_T3_mT4_P12ihipStream_tbEUlT_E_NS1_11comp_targetILNS1_3genE4ELNS1_11target_archE910ELNS1_3gpuE8ELNS1_3repE0EEENS1_30default_config_static_selectorELNS0_4arch9wavefront6targetE0EEEvT1_ ; -- Begin function _ZN7rocprim17ROCPRIM_400000_NS6detail17trampoline_kernelINS0_14default_configENS1_25transform_config_selectorImLb0EEEZNS1_14transform_implILb0ES3_S5_NS0_17constant_iteratorImlEEPmNS0_8identityImEEEE10hipError_tT2_T3_mT4_P12ihipStream_tbEUlT_E_NS1_11comp_targetILNS1_3genE4ELNS1_11target_archE910ELNS1_3gpuE8ELNS1_3repE0EEENS1_30default_config_static_selectorELNS0_4arch9wavefront6targetE0EEEvT1_
	.globl	_ZN7rocprim17ROCPRIM_400000_NS6detail17trampoline_kernelINS0_14default_configENS1_25transform_config_selectorImLb0EEEZNS1_14transform_implILb0ES3_S5_NS0_17constant_iteratorImlEEPmNS0_8identityImEEEE10hipError_tT2_T3_mT4_P12ihipStream_tbEUlT_E_NS1_11comp_targetILNS1_3genE4ELNS1_11target_archE910ELNS1_3gpuE8ELNS1_3repE0EEENS1_30default_config_static_selectorELNS0_4arch9wavefront6targetE0EEEvT1_
	.p2align	8
	.type	_ZN7rocprim17ROCPRIM_400000_NS6detail17trampoline_kernelINS0_14default_configENS1_25transform_config_selectorImLb0EEEZNS1_14transform_implILb0ES3_S5_NS0_17constant_iteratorImlEEPmNS0_8identityImEEEE10hipError_tT2_T3_mT4_P12ihipStream_tbEUlT_E_NS1_11comp_targetILNS1_3genE4ELNS1_11target_archE910ELNS1_3gpuE8ELNS1_3repE0EEENS1_30default_config_static_selectorELNS0_4arch9wavefront6targetE0EEEvT1_,@function
_ZN7rocprim17ROCPRIM_400000_NS6detail17trampoline_kernelINS0_14default_configENS1_25transform_config_selectorImLb0EEEZNS1_14transform_implILb0ES3_S5_NS0_17constant_iteratorImlEEPmNS0_8identityImEEEE10hipError_tT2_T3_mT4_P12ihipStream_tbEUlT_E_NS1_11comp_targetILNS1_3genE4ELNS1_11target_archE910ELNS1_3gpuE8ELNS1_3repE0EEENS1_30default_config_static_selectorELNS0_4arch9wavefront6targetE0EEEvT1_: ; @_ZN7rocprim17ROCPRIM_400000_NS6detail17trampoline_kernelINS0_14default_configENS1_25transform_config_selectorImLb0EEEZNS1_14transform_implILb0ES3_S5_NS0_17constant_iteratorImlEEPmNS0_8identityImEEEE10hipError_tT2_T3_mT4_P12ihipStream_tbEUlT_E_NS1_11comp_targetILNS1_3genE4ELNS1_11target_archE910ELNS1_3gpuE8ELNS1_3repE0EEENS1_30default_config_static_selectorELNS0_4arch9wavefront6targetE0EEEvT1_
; %bb.0:
	.section	.rodata,"a",@progbits
	.p2align	6, 0x0
	.amdhsa_kernel _ZN7rocprim17ROCPRIM_400000_NS6detail17trampoline_kernelINS0_14default_configENS1_25transform_config_selectorImLb0EEEZNS1_14transform_implILb0ES3_S5_NS0_17constant_iteratorImlEEPmNS0_8identityImEEEE10hipError_tT2_T3_mT4_P12ihipStream_tbEUlT_E_NS1_11comp_targetILNS1_3genE4ELNS1_11target_archE910ELNS1_3gpuE8ELNS1_3repE0EEENS1_30default_config_static_selectorELNS0_4arch9wavefront6targetE0EEEvT1_
		.amdhsa_group_segment_fixed_size 0
		.amdhsa_private_segment_fixed_size 0
		.amdhsa_kernarg_size 48
		.amdhsa_user_sgpr_count 6
		.amdhsa_user_sgpr_private_segment_buffer 1
		.amdhsa_user_sgpr_dispatch_ptr 0
		.amdhsa_user_sgpr_queue_ptr 0
		.amdhsa_user_sgpr_kernarg_segment_ptr 1
		.amdhsa_user_sgpr_dispatch_id 0
		.amdhsa_user_sgpr_flat_scratch_init 0
		.amdhsa_user_sgpr_private_segment_size 0
		.amdhsa_wavefront_size32 1
		.amdhsa_uses_dynamic_stack 0
		.amdhsa_system_sgpr_private_segment_wavefront_offset 0
		.amdhsa_system_sgpr_workgroup_id_x 1
		.amdhsa_system_sgpr_workgroup_id_y 0
		.amdhsa_system_sgpr_workgroup_id_z 0
		.amdhsa_system_sgpr_workgroup_info 0
		.amdhsa_system_vgpr_workitem_id 0
		.amdhsa_next_free_vgpr 1
		.amdhsa_next_free_sgpr 1
		.amdhsa_reserve_vcc 0
		.amdhsa_reserve_flat_scratch 0
		.amdhsa_float_round_mode_32 0
		.amdhsa_float_round_mode_16_64 0
		.amdhsa_float_denorm_mode_32 3
		.amdhsa_float_denorm_mode_16_64 3
		.amdhsa_dx10_clamp 1
		.amdhsa_ieee_mode 1
		.amdhsa_fp16_overflow 0
		.amdhsa_workgroup_processor_mode 1
		.amdhsa_memory_ordered 1
		.amdhsa_forward_progress 1
		.amdhsa_shared_vgpr_count 0
		.amdhsa_exception_fp_ieee_invalid_op 0
		.amdhsa_exception_fp_denorm_src 0
		.amdhsa_exception_fp_ieee_div_zero 0
		.amdhsa_exception_fp_ieee_overflow 0
		.amdhsa_exception_fp_ieee_underflow 0
		.amdhsa_exception_fp_ieee_inexact 0
		.amdhsa_exception_int_div_zero 0
	.end_amdhsa_kernel
	.section	.text._ZN7rocprim17ROCPRIM_400000_NS6detail17trampoline_kernelINS0_14default_configENS1_25transform_config_selectorImLb0EEEZNS1_14transform_implILb0ES3_S5_NS0_17constant_iteratorImlEEPmNS0_8identityImEEEE10hipError_tT2_T3_mT4_P12ihipStream_tbEUlT_E_NS1_11comp_targetILNS1_3genE4ELNS1_11target_archE910ELNS1_3gpuE8ELNS1_3repE0EEENS1_30default_config_static_selectorELNS0_4arch9wavefront6targetE0EEEvT1_,"axG",@progbits,_ZN7rocprim17ROCPRIM_400000_NS6detail17trampoline_kernelINS0_14default_configENS1_25transform_config_selectorImLb0EEEZNS1_14transform_implILb0ES3_S5_NS0_17constant_iteratorImlEEPmNS0_8identityImEEEE10hipError_tT2_T3_mT4_P12ihipStream_tbEUlT_E_NS1_11comp_targetILNS1_3genE4ELNS1_11target_archE910ELNS1_3gpuE8ELNS1_3repE0EEENS1_30default_config_static_selectorELNS0_4arch9wavefront6targetE0EEEvT1_,comdat
.Lfunc_end3:
	.size	_ZN7rocprim17ROCPRIM_400000_NS6detail17trampoline_kernelINS0_14default_configENS1_25transform_config_selectorImLb0EEEZNS1_14transform_implILb0ES3_S5_NS0_17constant_iteratorImlEEPmNS0_8identityImEEEE10hipError_tT2_T3_mT4_P12ihipStream_tbEUlT_E_NS1_11comp_targetILNS1_3genE4ELNS1_11target_archE910ELNS1_3gpuE8ELNS1_3repE0EEENS1_30default_config_static_selectorELNS0_4arch9wavefront6targetE0EEEvT1_, .Lfunc_end3-_ZN7rocprim17ROCPRIM_400000_NS6detail17trampoline_kernelINS0_14default_configENS1_25transform_config_selectorImLb0EEEZNS1_14transform_implILb0ES3_S5_NS0_17constant_iteratorImlEEPmNS0_8identityImEEEE10hipError_tT2_T3_mT4_P12ihipStream_tbEUlT_E_NS1_11comp_targetILNS1_3genE4ELNS1_11target_archE910ELNS1_3gpuE8ELNS1_3repE0EEENS1_30default_config_static_selectorELNS0_4arch9wavefront6targetE0EEEvT1_
                                        ; -- End function
	.set _ZN7rocprim17ROCPRIM_400000_NS6detail17trampoline_kernelINS0_14default_configENS1_25transform_config_selectorImLb0EEEZNS1_14transform_implILb0ES3_S5_NS0_17constant_iteratorImlEEPmNS0_8identityImEEEE10hipError_tT2_T3_mT4_P12ihipStream_tbEUlT_E_NS1_11comp_targetILNS1_3genE4ELNS1_11target_archE910ELNS1_3gpuE8ELNS1_3repE0EEENS1_30default_config_static_selectorELNS0_4arch9wavefront6targetE0EEEvT1_.num_vgpr, 0
	.set _ZN7rocprim17ROCPRIM_400000_NS6detail17trampoline_kernelINS0_14default_configENS1_25transform_config_selectorImLb0EEEZNS1_14transform_implILb0ES3_S5_NS0_17constant_iteratorImlEEPmNS0_8identityImEEEE10hipError_tT2_T3_mT4_P12ihipStream_tbEUlT_E_NS1_11comp_targetILNS1_3genE4ELNS1_11target_archE910ELNS1_3gpuE8ELNS1_3repE0EEENS1_30default_config_static_selectorELNS0_4arch9wavefront6targetE0EEEvT1_.num_agpr, 0
	.set _ZN7rocprim17ROCPRIM_400000_NS6detail17trampoline_kernelINS0_14default_configENS1_25transform_config_selectorImLb0EEEZNS1_14transform_implILb0ES3_S5_NS0_17constant_iteratorImlEEPmNS0_8identityImEEEE10hipError_tT2_T3_mT4_P12ihipStream_tbEUlT_E_NS1_11comp_targetILNS1_3genE4ELNS1_11target_archE910ELNS1_3gpuE8ELNS1_3repE0EEENS1_30default_config_static_selectorELNS0_4arch9wavefront6targetE0EEEvT1_.numbered_sgpr, 0
	.set _ZN7rocprim17ROCPRIM_400000_NS6detail17trampoline_kernelINS0_14default_configENS1_25transform_config_selectorImLb0EEEZNS1_14transform_implILb0ES3_S5_NS0_17constant_iteratorImlEEPmNS0_8identityImEEEE10hipError_tT2_T3_mT4_P12ihipStream_tbEUlT_E_NS1_11comp_targetILNS1_3genE4ELNS1_11target_archE910ELNS1_3gpuE8ELNS1_3repE0EEENS1_30default_config_static_selectorELNS0_4arch9wavefront6targetE0EEEvT1_.num_named_barrier, 0
	.set _ZN7rocprim17ROCPRIM_400000_NS6detail17trampoline_kernelINS0_14default_configENS1_25transform_config_selectorImLb0EEEZNS1_14transform_implILb0ES3_S5_NS0_17constant_iteratorImlEEPmNS0_8identityImEEEE10hipError_tT2_T3_mT4_P12ihipStream_tbEUlT_E_NS1_11comp_targetILNS1_3genE4ELNS1_11target_archE910ELNS1_3gpuE8ELNS1_3repE0EEENS1_30default_config_static_selectorELNS0_4arch9wavefront6targetE0EEEvT1_.private_seg_size, 0
	.set _ZN7rocprim17ROCPRIM_400000_NS6detail17trampoline_kernelINS0_14default_configENS1_25transform_config_selectorImLb0EEEZNS1_14transform_implILb0ES3_S5_NS0_17constant_iteratorImlEEPmNS0_8identityImEEEE10hipError_tT2_T3_mT4_P12ihipStream_tbEUlT_E_NS1_11comp_targetILNS1_3genE4ELNS1_11target_archE910ELNS1_3gpuE8ELNS1_3repE0EEENS1_30default_config_static_selectorELNS0_4arch9wavefront6targetE0EEEvT1_.uses_vcc, 0
	.set _ZN7rocprim17ROCPRIM_400000_NS6detail17trampoline_kernelINS0_14default_configENS1_25transform_config_selectorImLb0EEEZNS1_14transform_implILb0ES3_S5_NS0_17constant_iteratorImlEEPmNS0_8identityImEEEE10hipError_tT2_T3_mT4_P12ihipStream_tbEUlT_E_NS1_11comp_targetILNS1_3genE4ELNS1_11target_archE910ELNS1_3gpuE8ELNS1_3repE0EEENS1_30default_config_static_selectorELNS0_4arch9wavefront6targetE0EEEvT1_.uses_flat_scratch, 0
	.set _ZN7rocprim17ROCPRIM_400000_NS6detail17trampoline_kernelINS0_14default_configENS1_25transform_config_selectorImLb0EEEZNS1_14transform_implILb0ES3_S5_NS0_17constant_iteratorImlEEPmNS0_8identityImEEEE10hipError_tT2_T3_mT4_P12ihipStream_tbEUlT_E_NS1_11comp_targetILNS1_3genE4ELNS1_11target_archE910ELNS1_3gpuE8ELNS1_3repE0EEENS1_30default_config_static_selectorELNS0_4arch9wavefront6targetE0EEEvT1_.has_dyn_sized_stack, 0
	.set _ZN7rocprim17ROCPRIM_400000_NS6detail17trampoline_kernelINS0_14default_configENS1_25transform_config_selectorImLb0EEEZNS1_14transform_implILb0ES3_S5_NS0_17constant_iteratorImlEEPmNS0_8identityImEEEE10hipError_tT2_T3_mT4_P12ihipStream_tbEUlT_E_NS1_11comp_targetILNS1_3genE4ELNS1_11target_archE910ELNS1_3gpuE8ELNS1_3repE0EEENS1_30default_config_static_selectorELNS0_4arch9wavefront6targetE0EEEvT1_.has_recursion, 0
	.set _ZN7rocprim17ROCPRIM_400000_NS6detail17trampoline_kernelINS0_14default_configENS1_25transform_config_selectorImLb0EEEZNS1_14transform_implILb0ES3_S5_NS0_17constant_iteratorImlEEPmNS0_8identityImEEEE10hipError_tT2_T3_mT4_P12ihipStream_tbEUlT_E_NS1_11comp_targetILNS1_3genE4ELNS1_11target_archE910ELNS1_3gpuE8ELNS1_3repE0EEENS1_30default_config_static_selectorELNS0_4arch9wavefront6targetE0EEEvT1_.has_indirect_call, 0
	.section	.AMDGPU.csdata,"",@progbits
; Kernel info:
; codeLenInByte = 0
; TotalNumSgprs: 0
; NumVgprs: 0
; ScratchSize: 0
; MemoryBound: 0
; FloatMode: 240
; IeeeMode: 1
; LDSByteSize: 0 bytes/workgroup (compile time only)
; SGPRBlocks: 0
; VGPRBlocks: 0
; NumSGPRsForWavesPerEU: 1
; NumVGPRsForWavesPerEU: 1
; Occupancy: 16
; WaveLimiterHint : 0
; COMPUTE_PGM_RSRC2:SCRATCH_EN: 0
; COMPUTE_PGM_RSRC2:USER_SGPR: 6
; COMPUTE_PGM_RSRC2:TRAP_HANDLER: 0
; COMPUTE_PGM_RSRC2:TGID_X_EN: 1
; COMPUTE_PGM_RSRC2:TGID_Y_EN: 0
; COMPUTE_PGM_RSRC2:TGID_Z_EN: 0
; COMPUTE_PGM_RSRC2:TIDIG_COMP_CNT: 0
	.section	.text._ZN7rocprim17ROCPRIM_400000_NS6detail17trampoline_kernelINS0_14default_configENS1_25transform_config_selectorImLb0EEEZNS1_14transform_implILb0ES3_S5_NS0_17constant_iteratorImlEEPmNS0_8identityImEEEE10hipError_tT2_T3_mT4_P12ihipStream_tbEUlT_E_NS1_11comp_targetILNS1_3genE3ELNS1_11target_archE908ELNS1_3gpuE7ELNS1_3repE0EEENS1_30default_config_static_selectorELNS0_4arch9wavefront6targetE0EEEvT1_,"axG",@progbits,_ZN7rocprim17ROCPRIM_400000_NS6detail17trampoline_kernelINS0_14default_configENS1_25transform_config_selectorImLb0EEEZNS1_14transform_implILb0ES3_S5_NS0_17constant_iteratorImlEEPmNS0_8identityImEEEE10hipError_tT2_T3_mT4_P12ihipStream_tbEUlT_E_NS1_11comp_targetILNS1_3genE3ELNS1_11target_archE908ELNS1_3gpuE7ELNS1_3repE0EEENS1_30default_config_static_selectorELNS0_4arch9wavefront6targetE0EEEvT1_,comdat
	.protected	_ZN7rocprim17ROCPRIM_400000_NS6detail17trampoline_kernelINS0_14default_configENS1_25transform_config_selectorImLb0EEEZNS1_14transform_implILb0ES3_S5_NS0_17constant_iteratorImlEEPmNS0_8identityImEEEE10hipError_tT2_T3_mT4_P12ihipStream_tbEUlT_E_NS1_11comp_targetILNS1_3genE3ELNS1_11target_archE908ELNS1_3gpuE7ELNS1_3repE0EEENS1_30default_config_static_selectorELNS0_4arch9wavefront6targetE0EEEvT1_ ; -- Begin function _ZN7rocprim17ROCPRIM_400000_NS6detail17trampoline_kernelINS0_14default_configENS1_25transform_config_selectorImLb0EEEZNS1_14transform_implILb0ES3_S5_NS0_17constant_iteratorImlEEPmNS0_8identityImEEEE10hipError_tT2_T3_mT4_P12ihipStream_tbEUlT_E_NS1_11comp_targetILNS1_3genE3ELNS1_11target_archE908ELNS1_3gpuE7ELNS1_3repE0EEENS1_30default_config_static_selectorELNS0_4arch9wavefront6targetE0EEEvT1_
	.globl	_ZN7rocprim17ROCPRIM_400000_NS6detail17trampoline_kernelINS0_14default_configENS1_25transform_config_selectorImLb0EEEZNS1_14transform_implILb0ES3_S5_NS0_17constant_iteratorImlEEPmNS0_8identityImEEEE10hipError_tT2_T3_mT4_P12ihipStream_tbEUlT_E_NS1_11comp_targetILNS1_3genE3ELNS1_11target_archE908ELNS1_3gpuE7ELNS1_3repE0EEENS1_30default_config_static_selectorELNS0_4arch9wavefront6targetE0EEEvT1_
	.p2align	8
	.type	_ZN7rocprim17ROCPRIM_400000_NS6detail17trampoline_kernelINS0_14default_configENS1_25transform_config_selectorImLb0EEEZNS1_14transform_implILb0ES3_S5_NS0_17constant_iteratorImlEEPmNS0_8identityImEEEE10hipError_tT2_T3_mT4_P12ihipStream_tbEUlT_E_NS1_11comp_targetILNS1_3genE3ELNS1_11target_archE908ELNS1_3gpuE7ELNS1_3repE0EEENS1_30default_config_static_selectorELNS0_4arch9wavefront6targetE0EEEvT1_,@function
_ZN7rocprim17ROCPRIM_400000_NS6detail17trampoline_kernelINS0_14default_configENS1_25transform_config_selectorImLb0EEEZNS1_14transform_implILb0ES3_S5_NS0_17constant_iteratorImlEEPmNS0_8identityImEEEE10hipError_tT2_T3_mT4_P12ihipStream_tbEUlT_E_NS1_11comp_targetILNS1_3genE3ELNS1_11target_archE908ELNS1_3gpuE7ELNS1_3repE0EEENS1_30default_config_static_selectorELNS0_4arch9wavefront6targetE0EEEvT1_: ; @_ZN7rocprim17ROCPRIM_400000_NS6detail17trampoline_kernelINS0_14default_configENS1_25transform_config_selectorImLb0EEEZNS1_14transform_implILb0ES3_S5_NS0_17constant_iteratorImlEEPmNS0_8identityImEEEE10hipError_tT2_T3_mT4_P12ihipStream_tbEUlT_E_NS1_11comp_targetILNS1_3genE3ELNS1_11target_archE908ELNS1_3gpuE7ELNS1_3repE0EEENS1_30default_config_static_selectorELNS0_4arch9wavefront6targetE0EEEvT1_
; %bb.0:
	.section	.rodata,"a",@progbits
	.p2align	6, 0x0
	.amdhsa_kernel _ZN7rocprim17ROCPRIM_400000_NS6detail17trampoline_kernelINS0_14default_configENS1_25transform_config_selectorImLb0EEEZNS1_14transform_implILb0ES3_S5_NS0_17constant_iteratorImlEEPmNS0_8identityImEEEE10hipError_tT2_T3_mT4_P12ihipStream_tbEUlT_E_NS1_11comp_targetILNS1_3genE3ELNS1_11target_archE908ELNS1_3gpuE7ELNS1_3repE0EEENS1_30default_config_static_selectorELNS0_4arch9wavefront6targetE0EEEvT1_
		.amdhsa_group_segment_fixed_size 0
		.amdhsa_private_segment_fixed_size 0
		.amdhsa_kernarg_size 48
		.amdhsa_user_sgpr_count 6
		.amdhsa_user_sgpr_private_segment_buffer 1
		.amdhsa_user_sgpr_dispatch_ptr 0
		.amdhsa_user_sgpr_queue_ptr 0
		.amdhsa_user_sgpr_kernarg_segment_ptr 1
		.amdhsa_user_sgpr_dispatch_id 0
		.amdhsa_user_sgpr_flat_scratch_init 0
		.amdhsa_user_sgpr_private_segment_size 0
		.amdhsa_wavefront_size32 1
		.amdhsa_uses_dynamic_stack 0
		.amdhsa_system_sgpr_private_segment_wavefront_offset 0
		.amdhsa_system_sgpr_workgroup_id_x 1
		.amdhsa_system_sgpr_workgroup_id_y 0
		.amdhsa_system_sgpr_workgroup_id_z 0
		.amdhsa_system_sgpr_workgroup_info 0
		.amdhsa_system_vgpr_workitem_id 0
		.amdhsa_next_free_vgpr 1
		.amdhsa_next_free_sgpr 1
		.amdhsa_reserve_vcc 0
		.amdhsa_reserve_flat_scratch 0
		.amdhsa_float_round_mode_32 0
		.amdhsa_float_round_mode_16_64 0
		.amdhsa_float_denorm_mode_32 3
		.amdhsa_float_denorm_mode_16_64 3
		.amdhsa_dx10_clamp 1
		.amdhsa_ieee_mode 1
		.amdhsa_fp16_overflow 0
		.amdhsa_workgroup_processor_mode 1
		.amdhsa_memory_ordered 1
		.amdhsa_forward_progress 1
		.amdhsa_shared_vgpr_count 0
		.amdhsa_exception_fp_ieee_invalid_op 0
		.amdhsa_exception_fp_denorm_src 0
		.amdhsa_exception_fp_ieee_div_zero 0
		.amdhsa_exception_fp_ieee_overflow 0
		.amdhsa_exception_fp_ieee_underflow 0
		.amdhsa_exception_fp_ieee_inexact 0
		.amdhsa_exception_int_div_zero 0
	.end_amdhsa_kernel
	.section	.text._ZN7rocprim17ROCPRIM_400000_NS6detail17trampoline_kernelINS0_14default_configENS1_25transform_config_selectorImLb0EEEZNS1_14transform_implILb0ES3_S5_NS0_17constant_iteratorImlEEPmNS0_8identityImEEEE10hipError_tT2_T3_mT4_P12ihipStream_tbEUlT_E_NS1_11comp_targetILNS1_3genE3ELNS1_11target_archE908ELNS1_3gpuE7ELNS1_3repE0EEENS1_30default_config_static_selectorELNS0_4arch9wavefront6targetE0EEEvT1_,"axG",@progbits,_ZN7rocprim17ROCPRIM_400000_NS6detail17trampoline_kernelINS0_14default_configENS1_25transform_config_selectorImLb0EEEZNS1_14transform_implILb0ES3_S5_NS0_17constant_iteratorImlEEPmNS0_8identityImEEEE10hipError_tT2_T3_mT4_P12ihipStream_tbEUlT_E_NS1_11comp_targetILNS1_3genE3ELNS1_11target_archE908ELNS1_3gpuE7ELNS1_3repE0EEENS1_30default_config_static_selectorELNS0_4arch9wavefront6targetE0EEEvT1_,comdat
.Lfunc_end4:
	.size	_ZN7rocprim17ROCPRIM_400000_NS6detail17trampoline_kernelINS0_14default_configENS1_25transform_config_selectorImLb0EEEZNS1_14transform_implILb0ES3_S5_NS0_17constant_iteratorImlEEPmNS0_8identityImEEEE10hipError_tT2_T3_mT4_P12ihipStream_tbEUlT_E_NS1_11comp_targetILNS1_3genE3ELNS1_11target_archE908ELNS1_3gpuE7ELNS1_3repE0EEENS1_30default_config_static_selectorELNS0_4arch9wavefront6targetE0EEEvT1_, .Lfunc_end4-_ZN7rocprim17ROCPRIM_400000_NS6detail17trampoline_kernelINS0_14default_configENS1_25transform_config_selectorImLb0EEEZNS1_14transform_implILb0ES3_S5_NS0_17constant_iteratorImlEEPmNS0_8identityImEEEE10hipError_tT2_T3_mT4_P12ihipStream_tbEUlT_E_NS1_11comp_targetILNS1_3genE3ELNS1_11target_archE908ELNS1_3gpuE7ELNS1_3repE0EEENS1_30default_config_static_selectorELNS0_4arch9wavefront6targetE0EEEvT1_
                                        ; -- End function
	.set _ZN7rocprim17ROCPRIM_400000_NS6detail17trampoline_kernelINS0_14default_configENS1_25transform_config_selectorImLb0EEEZNS1_14transform_implILb0ES3_S5_NS0_17constant_iteratorImlEEPmNS0_8identityImEEEE10hipError_tT2_T3_mT4_P12ihipStream_tbEUlT_E_NS1_11comp_targetILNS1_3genE3ELNS1_11target_archE908ELNS1_3gpuE7ELNS1_3repE0EEENS1_30default_config_static_selectorELNS0_4arch9wavefront6targetE0EEEvT1_.num_vgpr, 0
	.set _ZN7rocprim17ROCPRIM_400000_NS6detail17trampoline_kernelINS0_14default_configENS1_25transform_config_selectorImLb0EEEZNS1_14transform_implILb0ES3_S5_NS0_17constant_iteratorImlEEPmNS0_8identityImEEEE10hipError_tT2_T3_mT4_P12ihipStream_tbEUlT_E_NS1_11comp_targetILNS1_3genE3ELNS1_11target_archE908ELNS1_3gpuE7ELNS1_3repE0EEENS1_30default_config_static_selectorELNS0_4arch9wavefront6targetE0EEEvT1_.num_agpr, 0
	.set _ZN7rocprim17ROCPRIM_400000_NS6detail17trampoline_kernelINS0_14default_configENS1_25transform_config_selectorImLb0EEEZNS1_14transform_implILb0ES3_S5_NS0_17constant_iteratorImlEEPmNS0_8identityImEEEE10hipError_tT2_T3_mT4_P12ihipStream_tbEUlT_E_NS1_11comp_targetILNS1_3genE3ELNS1_11target_archE908ELNS1_3gpuE7ELNS1_3repE0EEENS1_30default_config_static_selectorELNS0_4arch9wavefront6targetE0EEEvT1_.numbered_sgpr, 0
	.set _ZN7rocprim17ROCPRIM_400000_NS6detail17trampoline_kernelINS0_14default_configENS1_25transform_config_selectorImLb0EEEZNS1_14transform_implILb0ES3_S5_NS0_17constant_iteratorImlEEPmNS0_8identityImEEEE10hipError_tT2_T3_mT4_P12ihipStream_tbEUlT_E_NS1_11comp_targetILNS1_3genE3ELNS1_11target_archE908ELNS1_3gpuE7ELNS1_3repE0EEENS1_30default_config_static_selectorELNS0_4arch9wavefront6targetE0EEEvT1_.num_named_barrier, 0
	.set _ZN7rocprim17ROCPRIM_400000_NS6detail17trampoline_kernelINS0_14default_configENS1_25transform_config_selectorImLb0EEEZNS1_14transform_implILb0ES3_S5_NS0_17constant_iteratorImlEEPmNS0_8identityImEEEE10hipError_tT2_T3_mT4_P12ihipStream_tbEUlT_E_NS1_11comp_targetILNS1_3genE3ELNS1_11target_archE908ELNS1_3gpuE7ELNS1_3repE0EEENS1_30default_config_static_selectorELNS0_4arch9wavefront6targetE0EEEvT1_.private_seg_size, 0
	.set _ZN7rocprim17ROCPRIM_400000_NS6detail17trampoline_kernelINS0_14default_configENS1_25transform_config_selectorImLb0EEEZNS1_14transform_implILb0ES3_S5_NS0_17constant_iteratorImlEEPmNS0_8identityImEEEE10hipError_tT2_T3_mT4_P12ihipStream_tbEUlT_E_NS1_11comp_targetILNS1_3genE3ELNS1_11target_archE908ELNS1_3gpuE7ELNS1_3repE0EEENS1_30default_config_static_selectorELNS0_4arch9wavefront6targetE0EEEvT1_.uses_vcc, 0
	.set _ZN7rocprim17ROCPRIM_400000_NS6detail17trampoline_kernelINS0_14default_configENS1_25transform_config_selectorImLb0EEEZNS1_14transform_implILb0ES3_S5_NS0_17constant_iteratorImlEEPmNS0_8identityImEEEE10hipError_tT2_T3_mT4_P12ihipStream_tbEUlT_E_NS1_11comp_targetILNS1_3genE3ELNS1_11target_archE908ELNS1_3gpuE7ELNS1_3repE0EEENS1_30default_config_static_selectorELNS0_4arch9wavefront6targetE0EEEvT1_.uses_flat_scratch, 0
	.set _ZN7rocprim17ROCPRIM_400000_NS6detail17trampoline_kernelINS0_14default_configENS1_25transform_config_selectorImLb0EEEZNS1_14transform_implILb0ES3_S5_NS0_17constant_iteratorImlEEPmNS0_8identityImEEEE10hipError_tT2_T3_mT4_P12ihipStream_tbEUlT_E_NS1_11comp_targetILNS1_3genE3ELNS1_11target_archE908ELNS1_3gpuE7ELNS1_3repE0EEENS1_30default_config_static_selectorELNS0_4arch9wavefront6targetE0EEEvT1_.has_dyn_sized_stack, 0
	.set _ZN7rocprim17ROCPRIM_400000_NS6detail17trampoline_kernelINS0_14default_configENS1_25transform_config_selectorImLb0EEEZNS1_14transform_implILb0ES3_S5_NS0_17constant_iteratorImlEEPmNS0_8identityImEEEE10hipError_tT2_T3_mT4_P12ihipStream_tbEUlT_E_NS1_11comp_targetILNS1_3genE3ELNS1_11target_archE908ELNS1_3gpuE7ELNS1_3repE0EEENS1_30default_config_static_selectorELNS0_4arch9wavefront6targetE0EEEvT1_.has_recursion, 0
	.set _ZN7rocprim17ROCPRIM_400000_NS6detail17trampoline_kernelINS0_14default_configENS1_25transform_config_selectorImLb0EEEZNS1_14transform_implILb0ES3_S5_NS0_17constant_iteratorImlEEPmNS0_8identityImEEEE10hipError_tT2_T3_mT4_P12ihipStream_tbEUlT_E_NS1_11comp_targetILNS1_3genE3ELNS1_11target_archE908ELNS1_3gpuE7ELNS1_3repE0EEENS1_30default_config_static_selectorELNS0_4arch9wavefront6targetE0EEEvT1_.has_indirect_call, 0
	.section	.AMDGPU.csdata,"",@progbits
; Kernel info:
; codeLenInByte = 0
; TotalNumSgprs: 0
; NumVgprs: 0
; ScratchSize: 0
; MemoryBound: 0
; FloatMode: 240
; IeeeMode: 1
; LDSByteSize: 0 bytes/workgroup (compile time only)
; SGPRBlocks: 0
; VGPRBlocks: 0
; NumSGPRsForWavesPerEU: 1
; NumVGPRsForWavesPerEU: 1
; Occupancy: 16
; WaveLimiterHint : 0
; COMPUTE_PGM_RSRC2:SCRATCH_EN: 0
; COMPUTE_PGM_RSRC2:USER_SGPR: 6
; COMPUTE_PGM_RSRC2:TRAP_HANDLER: 0
; COMPUTE_PGM_RSRC2:TGID_X_EN: 1
; COMPUTE_PGM_RSRC2:TGID_Y_EN: 0
; COMPUTE_PGM_RSRC2:TGID_Z_EN: 0
; COMPUTE_PGM_RSRC2:TIDIG_COMP_CNT: 0
	.section	.text._ZN7rocprim17ROCPRIM_400000_NS6detail17trampoline_kernelINS0_14default_configENS1_25transform_config_selectorImLb0EEEZNS1_14transform_implILb0ES3_S5_NS0_17constant_iteratorImlEEPmNS0_8identityImEEEE10hipError_tT2_T3_mT4_P12ihipStream_tbEUlT_E_NS1_11comp_targetILNS1_3genE2ELNS1_11target_archE906ELNS1_3gpuE6ELNS1_3repE0EEENS1_30default_config_static_selectorELNS0_4arch9wavefront6targetE0EEEvT1_,"axG",@progbits,_ZN7rocprim17ROCPRIM_400000_NS6detail17trampoline_kernelINS0_14default_configENS1_25transform_config_selectorImLb0EEEZNS1_14transform_implILb0ES3_S5_NS0_17constant_iteratorImlEEPmNS0_8identityImEEEE10hipError_tT2_T3_mT4_P12ihipStream_tbEUlT_E_NS1_11comp_targetILNS1_3genE2ELNS1_11target_archE906ELNS1_3gpuE6ELNS1_3repE0EEENS1_30default_config_static_selectorELNS0_4arch9wavefront6targetE0EEEvT1_,comdat
	.protected	_ZN7rocprim17ROCPRIM_400000_NS6detail17trampoline_kernelINS0_14default_configENS1_25transform_config_selectorImLb0EEEZNS1_14transform_implILb0ES3_S5_NS0_17constant_iteratorImlEEPmNS0_8identityImEEEE10hipError_tT2_T3_mT4_P12ihipStream_tbEUlT_E_NS1_11comp_targetILNS1_3genE2ELNS1_11target_archE906ELNS1_3gpuE6ELNS1_3repE0EEENS1_30default_config_static_selectorELNS0_4arch9wavefront6targetE0EEEvT1_ ; -- Begin function _ZN7rocprim17ROCPRIM_400000_NS6detail17trampoline_kernelINS0_14default_configENS1_25transform_config_selectorImLb0EEEZNS1_14transform_implILb0ES3_S5_NS0_17constant_iteratorImlEEPmNS0_8identityImEEEE10hipError_tT2_T3_mT4_P12ihipStream_tbEUlT_E_NS1_11comp_targetILNS1_3genE2ELNS1_11target_archE906ELNS1_3gpuE6ELNS1_3repE0EEENS1_30default_config_static_selectorELNS0_4arch9wavefront6targetE0EEEvT1_
	.globl	_ZN7rocprim17ROCPRIM_400000_NS6detail17trampoline_kernelINS0_14default_configENS1_25transform_config_selectorImLb0EEEZNS1_14transform_implILb0ES3_S5_NS0_17constant_iteratorImlEEPmNS0_8identityImEEEE10hipError_tT2_T3_mT4_P12ihipStream_tbEUlT_E_NS1_11comp_targetILNS1_3genE2ELNS1_11target_archE906ELNS1_3gpuE6ELNS1_3repE0EEENS1_30default_config_static_selectorELNS0_4arch9wavefront6targetE0EEEvT1_
	.p2align	8
	.type	_ZN7rocprim17ROCPRIM_400000_NS6detail17trampoline_kernelINS0_14default_configENS1_25transform_config_selectorImLb0EEEZNS1_14transform_implILb0ES3_S5_NS0_17constant_iteratorImlEEPmNS0_8identityImEEEE10hipError_tT2_T3_mT4_P12ihipStream_tbEUlT_E_NS1_11comp_targetILNS1_3genE2ELNS1_11target_archE906ELNS1_3gpuE6ELNS1_3repE0EEENS1_30default_config_static_selectorELNS0_4arch9wavefront6targetE0EEEvT1_,@function
_ZN7rocprim17ROCPRIM_400000_NS6detail17trampoline_kernelINS0_14default_configENS1_25transform_config_selectorImLb0EEEZNS1_14transform_implILb0ES3_S5_NS0_17constant_iteratorImlEEPmNS0_8identityImEEEE10hipError_tT2_T3_mT4_P12ihipStream_tbEUlT_E_NS1_11comp_targetILNS1_3genE2ELNS1_11target_archE906ELNS1_3gpuE6ELNS1_3repE0EEENS1_30default_config_static_selectorELNS0_4arch9wavefront6targetE0EEEvT1_: ; @_ZN7rocprim17ROCPRIM_400000_NS6detail17trampoline_kernelINS0_14default_configENS1_25transform_config_selectorImLb0EEEZNS1_14transform_implILb0ES3_S5_NS0_17constant_iteratorImlEEPmNS0_8identityImEEEE10hipError_tT2_T3_mT4_P12ihipStream_tbEUlT_E_NS1_11comp_targetILNS1_3genE2ELNS1_11target_archE906ELNS1_3gpuE6ELNS1_3repE0EEENS1_30default_config_static_selectorELNS0_4arch9wavefront6targetE0EEEvT1_
; %bb.0:
	.section	.rodata,"a",@progbits
	.p2align	6, 0x0
	.amdhsa_kernel _ZN7rocprim17ROCPRIM_400000_NS6detail17trampoline_kernelINS0_14default_configENS1_25transform_config_selectorImLb0EEEZNS1_14transform_implILb0ES3_S5_NS0_17constant_iteratorImlEEPmNS0_8identityImEEEE10hipError_tT2_T3_mT4_P12ihipStream_tbEUlT_E_NS1_11comp_targetILNS1_3genE2ELNS1_11target_archE906ELNS1_3gpuE6ELNS1_3repE0EEENS1_30default_config_static_selectorELNS0_4arch9wavefront6targetE0EEEvT1_
		.amdhsa_group_segment_fixed_size 0
		.amdhsa_private_segment_fixed_size 0
		.amdhsa_kernarg_size 48
		.amdhsa_user_sgpr_count 6
		.amdhsa_user_sgpr_private_segment_buffer 1
		.amdhsa_user_sgpr_dispatch_ptr 0
		.amdhsa_user_sgpr_queue_ptr 0
		.amdhsa_user_sgpr_kernarg_segment_ptr 1
		.amdhsa_user_sgpr_dispatch_id 0
		.amdhsa_user_sgpr_flat_scratch_init 0
		.amdhsa_user_sgpr_private_segment_size 0
		.amdhsa_wavefront_size32 1
		.amdhsa_uses_dynamic_stack 0
		.amdhsa_system_sgpr_private_segment_wavefront_offset 0
		.amdhsa_system_sgpr_workgroup_id_x 1
		.amdhsa_system_sgpr_workgroup_id_y 0
		.amdhsa_system_sgpr_workgroup_id_z 0
		.amdhsa_system_sgpr_workgroup_info 0
		.amdhsa_system_vgpr_workitem_id 0
		.amdhsa_next_free_vgpr 1
		.amdhsa_next_free_sgpr 1
		.amdhsa_reserve_vcc 0
		.amdhsa_reserve_flat_scratch 0
		.amdhsa_float_round_mode_32 0
		.amdhsa_float_round_mode_16_64 0
		.amdhsa_float_denorm_mode_32 3
		.amdhsa_float_denorm_mode_16_64 3
		.amdhsa_dx10_clamp 1
		.amdhsa_ieee_mode 1
		.amdhsa_fp16_overflow 0
		.amdhsa_workgroup_processor_mode 1
		.amdhsa_memory_ordered 1
		.amdhsa_forward_progress 1
		.amdhsa_shared_vgpr_count 0
		.amdhsa_exception_fp_ieee_invalid_op 0
		.amdhsa_exception_fp_denorm_src 0
		.amdhsa_exception_fp_ieee_div_zero 0
		.amdhsa_exception_fp_ieee_overflow 0
		.amdhsa_exception_fp_ieee_underflow 0
		.amdhsa_exception_fp_ieee_inexact 0
		.amdhsa_exception_int_div_zero 0
	.end_amdhsa_kernel
	.section	.text._ZN7rocprim17ROCPRIM_400000_NS6detail17trampoline_kernelINS0_14default_configENS1_25transform_config_selectorImLb0EEEZNS1_14transform_implILb0ES3_S5_NS0_17constant_iteratorImlEEPmNS0_8identityImEEEE10hipError_tT2_T3_mT4_P12ihipStream_tbEUlT_E_NS1_11comp_targetILNS1_3genE2ELNS1_11target_archE906ELNS1_3gpuE6ELNS1_3repE0EEENS1_30default_config_static_selectorELNS0_4arch9wavefront6targetE0EEEvT1_,"axG",@progbits,_ZN7rocprim17ROCPRIM_400000_NS6detail17trampoline_kernelINS0_14default_configENS1_25transform_config_selectorImLb0EEEZNS1_14transform_implILb0ES3_S5_NS0_17constant_iteratorImlEEPmNS0_8identityImEEEE10hipError_tT2_T3_mT4_P12ihipStream_tbEUlT_E_NS1_11comp_targetILNS1_3genE2ELNS1_11target_archE906ELNS1_3gpuE6ELNS1_3repE0EEENS1_30default_config_static_selectorELNS0_4arch9wavefront6targetE0EEEvT1_,comdat
.Lfunc_end5:
	.size	_ZN7rocprim17ROCPRIM_400000_NS6detail17trampoline_kernelINS0_14default_configENS1_25transform_config_selectorImLb0EEEZNS1_14transform_implILb0ES3_S5_NS0_17constant_iteratorImlEEPmNS0_8identityImEEEE10hipError_tT2_T3_mT4_P12ihipStream_tbEUlT_E_NS1_11comp_targetILNS1_3genE2ELNS1_11target_archE906ELNS1_3gpuE6ELNS1_3repE0EEENS1_30default_config_static_selectorELNS0_4arch9wavefront6targetE0EEEvT1_, .Lfunc_end5-_ZN7rocprim17ROCPRIM_400000_NS6detail17trampoline_kernelINS0_14default_configENS1_25transform_config_selectorImLb0EEEZNS1_14transform_implILb0ES3_S5_NS0_17constant_iteratorImlEEPmNS0_8identityImEEEE10hipError_tT2_T3_mT4_P12ihipStream_tbEUlT_E_NS1_11comp_targetILNS1_3genE2ELNS1_11target_archE906ELNS1_3gpuE6ELNS1_3repE0EEENS1_30default_config_static_selectorELNS0_4arch9wavefront6targetE0EEEvT1_
                                        ; -- End function
	.set _ZN7rocprim17ROCPRIM_400000_NS6detail17trampoline_kernelINS0_14default_configENS1_25transform_config_selectorImLb0EEEZNS1_14transform_implILb0ES3_S5_NS0_17constant_iteratorImlEEPmNS0_8identityImEEEE10hipError_tT2_T3_mT4_P12ihipStream_tbEUlT_E_NS1_11comp_targetILNS1_3genE2ELNS1_11target_archE906ELNS1_3gpuE6ELNS1_3repE0EEENS1_30default_config_static_selectorELNS0_4arch9wavefront6targetE0EEEvT1_.num_vgpr, 0
	.set _ZN7rocprim17ROCPRIM_400000_NS6detail17trampoline_kernelINS0_14default_configENS1_25transform_config_selectorImLb0EEEZNS1_14transform_implILb0ES3_S5_NS0_17constant_iteratorImlEEPmNS0_8identityImEEEE10hipError_tT2_T3_mT4_P12ihipStream_tbEUlT_E_NS1_11comp_targetILNS1_3genE2ELNS1_11target_archE906ELNS1_3gpuE6ELNS1_3repE0EEENS1_30default_config_static_selectorELNS0_4arch9wavefront6targetE0EEEvT1_.num_agpr, 0
	.set _ZN7rocprim17ROCPRIM_400000_NS6detail17trampoline_kernelINS0_14default_configENS1_25transform_config_selectorImLb0EEEZNS1_14transform_implILb0ES3_S5_NS0_17constant_iteratorImlEEPmNS0_8identityImEEEE10hipError_tT2_T3_mT4_P12ihipStream_tbEUlT_E_NS1_11comp_targetILNS1_3genE2ELNS1_11target_archE906ELNS1_3gpuE6ELNS1_3repE0EEENS1_30default_config_static_selectorELNS0_4arch9wavefront6targetE0EEEvT1_.numbered_sgpr, 0
	.set _ZN7rocprim17ROCPRIM_400000_NS6detail17trampoline_kernelINS0_14default_configENS1_25transform_config_selectorImLb0EEEZNS1_14transform_implILb0ES3_S5_NS0_17constant_iteratorImlEEPmNS0_8identityImEEEE10hipError_tT2_T3_mT4_P12ihipStream_tbEUlT_E_NS1_11comp_targetILNS1_3genE2ELNS1_11target_archE906ELNS1_3gpuE6ELNS1_3repE0EEENS1_30default_config_static_selectorELNS0_4arch9wavefront6targetE0EEEvT1_.num_named_barrier, 0
	.set _ZN7rocprim17ROCPRIM_400000_NS6detail17trampoline_kernelINS0_14default_configENS1_25transform_config_selectorImLb0EEEZNS1_14transform_implILb0ES3_S5_NS0_17constant_iteratorImlEEPmNS0_8identityImEEEE10hipError_tT2_T3_mT4_P12ihipStream_tbEUlT_E_NS1_11comp_targetILNS1_3genE2ELNS1_11target_archE906ELNS1_3gpuE6ELNS1_3repE0EEENS1_30default_config_static_selectorELNS0_4arch9wavefront6targetE0EEEvT1_.private_seg_size, 0
	.set _ZN7rocprim17ROCPRIM_400000_NS6detail17trampoline_kernelINS0_14default_configENS1_25transform_config_selectorImLb0EEEZNS1_14transform_implILb0ES3_S5_NS0_17constant_iteratorImlEEPmNS0_8identityImEEEE10hipError_tT2_T3_mT4_P12ihipStream_tbEUlT_E_NS1_11comp_targetILNS1_3genE2ELNS1_11target_archE906ELNS1_3gpuE6ELNS1_3repE0EEENS1_30default_config_static_selectorELNS0_4arch9wavefront6targetE0EEEvT1_.uses_vcc, 0
	.set _ZN7rocprim17ROCPRIM_400000_NS6detail17trampoline_kernelINS0_14default_configENS1_25transform_config_selectorImLb0EEEZNS1_14transform_implILb0ES3_S5_NS0_17constant_iteratorImlEEPmNS0_8identityImEEEE10hipError_tT2_T3_mT4_P12ihipStream_tbEUlT_E_NS1_11comp_targetILNS1_3genE2ELNS1_11target_archE906ELNS1_3gpuE6ELNS1_3repE0EEENS1_30default_config_static_selectorELNS0_4arch9wavefront6targetE0EEEvT1_.uses_flat_scratch, 0
	.set _ZN7rocprim17ROCPRIM_400000_NS6detail17trampoline_kernelINS0_14default_configENS1_25transform_config_selectorImLb0EEEZNS1_14transform_implILb0ES3_S5_NS0_17constant_iteratorImlEEPmNS0_8identityImEEEE10hipError_tT2_T3_mT4_P12ihipStream_tbEUlT_E_NS1_11comp_targetILNS1_3genE2ELNS1_11target_archE906ELNS1_3gpuE6ELNS1_3repE0EEENS1_30default_config_static_selectorELNS0_4arch9wavefront6targetE0EEEvT1_.has_dyn_sized_stack, 0
	.set _ZN7rocprim17ROCPRIM_400000_NS6detail17trampoline_kernelINS0_14default_configENS1_25transform_config_selectorImLb0EEEZNS1_14transform_implILb0ES3_S5_NS0_17constant_iteratorImlEEPmNS0_8identityImEEEE10hipError_tT2_T3_mT4_P12ihipStream_tbEUlT_E_NS1_11comp_targetILNS1_3genE2ELNS1_11target_archE906ELNS1_3gpuE6ELNS1_3repE0EEENS1_30default_config_static_selectorELNS0_4arch9wavefront6targetE0EEEvT1_.has_recursion, 0
	.set _ZN7rocprim17ROCPRIM_400000_NS6detail17trampoline_kernelINS0_14default_configENS1_25transform_config_selectorImLb0EEEZNS1_14transform_implILb0ES3_S5_NS0_17constant_iteratorImlEEPmNS0_8identityImEEEE10hipError_tT2_T3_mT4_P12ihipStream_tbEUlT_E_NS1_11comp_targetILNS1_3genE2ELNS1_11target_archE906ELNS1_3gpuE6ELNS1_3repE0EEENS1_30default_config_static_selectorELNS0_4arch9wavefront6targetE0EEEvT1_.has_indirect_call, 0
	.section	.AMDGPU.csdata,"",@progbits
; Kernel info:
; codeLenInByte = 0
; TotalNumSgprs: 0
; NumVgprs: 0
; ScratchSize: 0
; MemoryBound: 0
; FloatMode: 240
; IeeeMode: 1
; LDSByteSize: 0 bytes/workgroup (compile time only)
; SGPRBlocks: 0
; VGPRBlocks: 0
; NumSGPRsForWavesPerEU: 1
; NumVGPRsForWavesPerEU: 1
; Occupancy: 16
; WaveLimiterHint : 0
; COMPUTE_PGM_RSRC2:SCRATCH_EN: 0
; COMPUTE_PGM_RSRC2:USER_SGPR: 6
; COMPUTE_PGM_RSRC2:TRAP_HANDLER: 0
; COMPUTE_PGM_RSRC2:TGID_X_EN: 1
; COMPUTE_PGM_RSRC2:TGID_Y_EN: 0
; COMPUTE_PGM_RSRC2:TGID_Z_EN: 0
; COMPUTE_PGM_RSRC2:TIDIG_COMP_CNT: 0
	.section	.text._ZN7rocprim17ROCPRIM_400000_NS6detail17trampoline_kernelINS0_14default_configENS1_25transform_config_selectorImLb0EEEZNS1_14transform_implILb0ES3_S5_NS0_17constant_iteratorImlEEPmNS0_8identityImEEEE10hipError_tT2_T3_mT4_P12ihipStream_tbEUlT_E_NS1_11comp_targetILNS1_3genE10ELNS1_11target_archE1201ELNS1_3gpuE5ELNS1_3repE0EEENS1_30default_config_static_selectorELNS0_4arch9wavefront6targetE0EEEvT1_,"axG",@progbits,_ZN7rocprim17ROCPRIM_400000_NS6detail17trampoline_kernelINS0_14default_configENS1_25transform_config_selectorImLb0EEEZNS1_14transform_implILb0ES3_S5_NS0_17constant_iteratorImlEEPmNS0_8identityImEEEE10hipError_tT2_T3_mT4_P12ihipStream_tbEUlT_E_NS1_11comp_targetILNS1_3genE10ELNS1_11target_archE1201ELNS1_3gpuE5ELNS1_3repE0EEENS1_30default_config_static_selectorELNS0_4arch9wavefront6targetE0EEEvT1_,comdat
	.protected	_ZN7rocprim17ROCPRIM_400000_NS6detail17trampoline_kernelINS0_14default_configENS1_25transform_config_selectorImLb0EEEZNS1_14transform_implILb0ES3_S5_NS0_17constant_iteratorImlEEPmNS0_8identityImEEEE10hipError_tT2_T3_mT4_P12ihipStream_tbEUlT_E_NS1_11comp_targetILNS1_3genE10ELNS1_11target_archE1201ELNS1_3gpuE5ELNS1_3repE0EEENS1_30default_config_static_selectorELNS0_4arch9wavefront6targetE0EEEvT1_ ; -- Begin function _ZN7rocprim17ROCPRIM_400000_NS6detail17trampoline_kernelINS0_14default_configENS1_25transform_config_selectorImLb0EEEZNS1_14transform_implILb0ES3_S5_NS0_17constant_iteratorImlEEPmNS0_8identityImEEEE10hipError_tT2_T3_mT4_P12ihipStream_tbEUlT_E_NS1_11comp_targetILNS1_3genE10ELNS1_11target_archE1201ELNS1_3gpuE5ELNS1_3repE0EEENS1_30default_config_static_selectorELNS0_4arch9wavefront6targetE0EEEvT1_
	.globl	_ZN7rocprim17ROCPRIM_400000_NS6detail17trampoline_kernelINS0_14default_configENS1_25transform_config_selectorImLb0EEEZNS1_14transform_implILb0ES3_S5_NS0_17constant_iteratorImlEEPmNS0_8identityImEEEE10hipError_tT2_T3_mT4_P12ihipStream_tbEUlT_E_NS1_11comp_targetILNS1_3genE10ELNS1_11target_archE1201ELNS1_3gpuE5ELNS1_3repE0EEENS1_30default_config_static_selectorELNS0_4arch9wavefront6targetE0EEEvT1_
	.p2align	8
	.type	_ZN7rocprim17ROCPRIM_400000_NS6detail17trampoline_kernelINS0_14default_configENS1_25transform_config_selectorImLb0EEEZNS1_14transform_implILb0ES3_S5_NS0_17constant_iteratorImlEEPmNS0_8identityImEEEE10hipError_tT2_T3_mT4_P12ihipStream_tbEUlT_E_NS1_11comp_targetILNS1_3genE10ELNS1_11target_archE1201ELNS1_3gpuE5ELNS1_3repE0EEENS1_30default_config_static_selectorELNS0_4arch9wavefront6targetE0EEEvT1_,@function
_ZN7rocprim17ROCPRIM_400000_NS6detail17trampoline_kernelINS0_14default_configENS1_25transform_config_selectorImLb0EEEZNS1_14transform_implILb0ES3_S5_NS0_17constant_iteratorImlEEPmNS0_8identityImEEEE10hipError_tT2_T3_mT4_P12ihipStream_tbEUlT_E_NS1_11comp_targetILNS1_3genE10ELNS1_11target_archE1201ELNS1_3gpuE5ELNS1_3repE0EEENS1_30default_config_static_selectorELNS0_4arch9wavefront6targetE0EEEvT1_: ; @_ZN7rocprim17ROCPRIM_400000_NS6detail17trampoline_kernelINS0_14default_configENS1_25transform_config_selectorImLb0EEEZNS1_14transform_implILb0ES3_S5_NS0_17constant_iteratorImlEEPmNS0_8identityImEEEE10hipError_tT2_T3_mT4_P12ihipStream_tbEUlT_E_NS1_11comp_targetILNS1_3genE10ELNS1_11target_archE1201ELNS1_3gpuE5ELNS1_3repE0EEENS1_30default_config_static_selectorELNS0_4arch9wavefront6targetE0EEEvT1_
; %bb.0:
	.section	.rodata,"a",@progbits
	.p2align	6, 0x0
	.amdhsa_kernel _ZN7rocprim17ROCPRIM_400000_NS6detail17trampoline_kernelINS0_14default_configENS1_25transform_config_selectorImLb0EEEZNS1_14transform_implILb0ES3_S5_NS0_17constant_iteratorImlEEPmNS0_8identityImEEEE10hipError_tT2_T3_mT4_P12ihipStream_tbEUlT_E_NS1_11comp_targetILNS1_3genE10ELNS1_11target_archE1201ELNS1_3gpuE5ELNS1_3repE0EEENS1_30default_config_static_selectorELNS0_4arch9wavefront6targetE0EEEvT1_
		.amdhsa_group_segment_fixed_size 0
		.amdhsa_private_segment_fixed_size 0
		.amdhsa_kernarg_size 48
		.amdhsa_user_sgpr_count 6
		.amdhsa_user_sgpr_private_segment_buffer 1
		.amdhsa_user_sgpr_dispatch_ptr 0
		.amdhsa_user_sgpr_queue_ptr 0
		.amdhsa_user_sgpr_kernarg_segment_ptr 1
		.amdhsa_user_sgpr_dispatch_id 0
		.amdhsa_user_sgpr_flat_scratch_init 0
		.amdhsa_user_sgpr_private_segment_size 0
		.amdhsa_wavefront_size32 1
		.amdhsa_uses_dynamic_stack 0
		.amdhsa_system_sgpr_private_segment_wavefront_offset 0
		.amdhsa_system_sgpr_workgroup_id_x 1
		.amdhsa_system_sgpr_workgroup_id_y 0
		.amdhsa_system_sgpr_workgroup_id_z 0
		.amdhsa_system_sgpr_workgroup_info 0
		.amdhsa_system_vgpr_workitem_id 0
		.amdhsa_next_free_vgpr 1
		.amdhsa_next_free_sgpr 1
		.amdhsa_reserve_vcc 0
		.amdhsa_reserve_flat_scratch 0
		.amdhsa_float_round_mode_32 0
		.amdhsa_float_round_mode_16_64 0
		.amdhsa_float_denorm_mode_32 3
		.amdhsa_float_denorm_mode_16_64 3
		.amdhsa_dx10_clamp 1
		.amdhsa_ieee_mode 1
		.amdhsa_fp16_overflow 0
		.amdhsa_workgroup_processor_mode 1
		.amdhsa_memory_ordered 1
		.amdhsa_forward_progress 1
		.amdhsa_shared_vgpr_count 0
		.amdhsa_exception_fp_ieee_invalid_op 0
		.amdhsa_exception_fp_denorm_src 0
		.amdhsa_exception_fp_ieee_div_zero 0
		.amdhsa_exception_fp_ieee_overflow 0
		.amdhsa_exception_fp_ieee_underflow 0
		.amdhsa_exception_fp_ieee_inexact 0
		.amdhsa_exception_int_div_zero 0
	.end_amdhsa_kernel
	.section	.text._ZN7rocprim17ROCPRIM_400000_NS6detail17trampoline_kernelINS0_14default_configENS1_25transform_config_selectorImLb0EEEZNS1_14transform_implILb0ES3_S5_NS0_17constant_iteratorImlEEPmNS0_8identityImEEEE10hipError_tT2_T3_mT4_P12ihipStream_tbEUlT_E_NS1_11comp_targetILNS1_3genE10ELNS1_11target_archE1201ELNS1_3gpuE5ELNS1_3repE0EEENS1_30default_config_static_selectorELNS0_4arch9wavefront6targetE0EEEvT1_,"axG",@progbits,_ZN7rocprim17ROCPRIM_400000_NS6detail17trampoline_kernelINS0_14default_configENS1_25transform_config_selectorImLb0EEEZNS1_14transform_implILb0ES3_S5_NS0_17constant_iteratorImlEEPmNS0_8identityImEEEE10hipError_tT2_T3_mT4_P12ihipStream_tbEUlT_E_NS1_11comp_targetILNS1_3genE10ELNS1_11target_archE1201ELNS1_3gpuE5ELNS1_3repE0EEENS1_30default_config_static_selectorELNS0_4arch9wavefront6targetE0EEEvT1_,comdat
.Lfunc_end6:
	.size	_ZN7rocprim17ROCPRIM_400000_NS6detail17trampoline_kernelINS0_14default_configENS1_25transform_config_selectorImLb0EEEZNS1_14transform_implILb0ES3_S5_NS0_17constant_iteratorImlEEPmNS0_8identityImEEEE10hipError_tT2_T3_mT4_P12ihipStream_tbEUlT_E_NS1_11comp_targetILNS1_3genE10ELNS1_11target_archE1201ELNS1_3gpuE5ELNS1_3repE0EEENS1_30default_config_static_selectorELNS0_4arch9wavefront6targetE0EEEvT1_, .Lfunc_end6-_ZN7rocprim17ROCPRIM_400000_NS6detail17trampoline_kernelINS0_14default_configENS1_25transform_config_selectorImLb0EEEZNS1_14transform_implILb0ES3_S5_NS0_17constant_iteratorImlEEPmNS0_8identityImEEEE10hipError_tT2_T3_mT4_P12ihipStream_tbEUlT_E_NS1_11comp_targetILNS1_3genE10ELNS1_11target_archE1201ELNS1_3gpuE5ELNS1_3repE0EEENS1_30default_config_static_selectorELNS0_4arch9wavefront6targetE0EEEvT1_
                                        ; -- End function
	.set _ZN7rocprim17ROCPRIM_400000_NS6detail17trampoline_kernelINS0_14default_configENS1_25transform_config_selectorImLb0EEEZNS1_14transform_implILb0ES3_S5_NS0_17constant_iteratorImlEEPmNS0_8identityImEEEE10hipError_tT2_T3_mT4_P12ihipStream_tbEUlT_E_NS1_11comp_targetILNS1_3genE10ELNS1_11target_archE1201ELNS1_3gpuE5ELNS1_3repE0EEENS1_30default_config_static_selectorELNS0_4arch9wavefront6targetE0EEEvT1_.num_vgpr, 0
	.set _ZN7rocprim17ROCPRIM_400000_NS6detail17trampoline_kernelINS0_14default_configENS1_25transform_config_selectorImLb0EEEZNS1_14transform_implILb0ES3_S5_NS0_17constant_iteratorImlEEPmNS0_8identityImEEEE10hipError_tT2_T3_mT4_P12ihipStream_tbEUlT_E_NS1_11comp_targetILNS1_3genE10ELNS1_11target_archE1201ELNS1_3gpuE5ELNS1_3repE0EEENS1_30default_config_static_selectorELNS0_4arch9wavefront6targetE0EEEvT1_.num_agpr, 0
	.set _ZN7rocprim17ROCPRIM_400000_NS6detail17trampoline_kernelINS0_14default_configENS1_25transform_config_selectorImLb0EEEZNS1_14transform_implILb0ES3_S5_NS0_17constant_iteratorImlEEPmNS0_8identityImEEEE10hipError_tT2_T3_mT4_P12ihipStream_tbEUlT_E_NS1_11comp_targetILNS1_3genE10ELNS1_11target_archE1201ELNS1_3gpuE5ELNS1_3repE0EEENS1_30default_config_static_selectorELNS0_4arch9wavefront6targetE0EEEvT1_.numbered_sgpr, 0
	.set _ZN7rocprim17ROCPRIM_400000_NS6detail17trampoline_kernelINS0_14default_configENS1_25transform_config_selectorImLb0EEEZNS1_14transform_implILb0ES3_S5_NS0_17constant_iteratorImlEEPmNS0_8identityImEEEE10hipError_tT2_T3_mT4_P12ihipStream_tbEUlT_E_NS1_11comp_targetILNS1_3genE10ELNS1_11target_archE1201ELNS1_3gpuE5ELNS1_3repE0EEENS1_30default_config_static_selectorELNS0_4arch9wavefront6targetE0EEEvT1_.num_named_barrier, 0
	.set _ZN7rocprim17ROCPRIM_400000_NS6detail17trampoline_kernelINS0_14default_configENS1_25transform_config_selectorImLb0EEEZNS1_14transform_implILb0ES3_S5_NS0_17constant_iteratorImlEEPmNS0_8identityImEEEE10hipError_tT2_T3_mT4_P12ihipStream_tbEUlT_E_NS1_11comp_targetILNS1_3genE10ELNS1_11target_archE1201ELNS1_3gpuE5ELNS1_3repE0EEENS1_30default_config_static_selectorELNS0_4arch9wavefront6targetE0EEEvT1_.private_seg_size, 0
	.set _ZN7rocprim17ROCPRIM_400000_NS6detail17trampoline_kernelINS0_14default_configENS1_25transform_config_selectorImLb0EEEZNS1_14transform_implILb0ES3_S5_NS0_17constant_iteratorImlEEPmNS0_8identityImEEEE10hipError_tT2_T3_mT4_P12ihipStream_tbEUlT_E_NS1_11comp_targetILNS1_3genE10ELNS1_11target_archE1201ELNS1_3gpuE5ELNS1_3repE0EEENS1_30default_config_static_selectorELNS0_4arch9wavefront6targetE0EEEvT1_.uses_vcc, 0
	.set _ZN7rocprim17ROCPRIM_400000_NS6detail17trampoline_kernelINS0_14default_configENS1_25transform_config_selectorImLb0EEEZNS1_14transform_implILb0ES3_S5_NS0_17constant_iteratorImlEEPmNS0_8identityImEEEE10hipError_tT2_T3_mT4_P12ihipStream_tbEUlT_E_NS1_11comp_targetILNS1_3genE10ELNS1_11target_archE1201ELNS1_3gpuE5ELNS1_3repE0EEENS1_30default_config_static_selectorELNS0_4arch9wavefront6targetE0EEEvT1_.uses_flat_scratch, 0
	.set _ZN7rocprim17ROCPRIM_400000_NS6detail17trampoline_kernelINS0_14default_configENS1_25transform_config_selectorImLb0EEEZNS1_14transform_implILb0ES3_S5_NS0_17constant_iteratorImlEEPmNS0_8identityImEEEE10hipError_tT2_T3_mT4_P12ihipStream_tbEUlT_E_NS1_11comp_targetILNS1_3genE10ELNS1_11target_archE1201ELNS1_3gpuE5ELNS1_3repE0EEENS1_30default_config_static_selectorELNS0_4arch9wavefront6targetE0EEEvT1_.has_dyn_sized_stack, 0
	.set _ZN7rocprim17ROCPRIM_400000_NS6detail17trampoline_kernelINS0_14default_configENS1_25transform_config_selectorImLb0EEEZNS1_14transform_implILb0ES3_S5_NS0_17constant_iteratorImlEEPmNS0_8identityImEEEE10hipError_tT2_T3_mT4_P12ihipStream_tbEUlT_E_NS1_11comp_targetILNS1_3genE10ELNS1_11target_archE1201ELNS1_3gpuE5ELNS1_3repE0EEENS1_30default_config_static_selectorELNS0_4arch9wavefront6targetE0EEEvT1_.has_recursion, 0
	.set _ZN7rocprim17ROCPRIM_400000_NS6detail17trampoline_kernelINS0_14default_configENS1_25transform_config_selectorImLb0EEEZNS1_14transform_implILb0ES3_S5_NS0_17constant_iteratorImlEEPmNS0_8identityImEEEE10hipError_tT2_T3_mT4_P12ihipStream_tbEUlT_E_NS1_11comp_targetILNS1_3genE10ELNS1_11target_archE1201ELNS1_3gpuE5ELNS1_3repE0EEENS1_30default_config_static_selectorELNS0_4arch9wavefront6targetE0EEEvT1_.has_indirect_call, 0
	.section	.AMDGPU.csdata,"",@progbits
; Kernel info:
; codeLenInByte = 0
; TotalNumSgprs: 0
; NumVgprs: 0
; ScratchSize: 0
; MemoryBound: 0
; FloatMode: 240
; IeeeMode: 1
; LDSByteSize: 0 bytes/workgroup (compile time only)
; SGPRBlocks: 0
; VGPRBlocks: 0
; NumSGPRsForWavesPerEU: 1
; NumVGPRsForWavesPerEU: 1
; Occupancy: 16
; WaveLimiterHint : 0
; COMPUTE_PGM_RSRC2:SCRATCH_EN: 0
; COMPUTE_PGM_RSRC2:USER_SGPR: 6
; COMPUTE_PGM_RSRC2:TRAP_HANDLER: 0
; COMPUTE_PGM_RSRC2:TGID_X_EN: 1
; COMPUTE_PGM_RSRC2:TGID_Y_EN: 0
; COMPUTE_PGM_RSRC2:TGID_Z_EN: 0
; COMPUTE_PGM_RSRC2:TIDIG_COMP_CNT: 0
	.section	.text._ZN7rocprim17ROCPRIM_400000_NS6detail17trampoline_kernelINS0_14default_configENS1_25transform_config_selectorImLb0EEEZNS1_14transform_implILb0ES3_S5_NS0_17constant_iteratorImlEEPmNS0_8identityImEEEE10hipError_tT2_T3_mT4_P12ihipStream_tbEUlT_E_NS1_11comp_targetILNS1_3genE10ELNS1_11target_archE1200ELNS1_3gpuE4ELNS1_3repE0EEENS1_30default_config_static_selectorELNS0_4arch9wavefront6targetE0EEEvT1_,"axG",@progbits,_ZN7rocprim17ROCPRIM_400000_NS6detail17trampoline_kernelINS0_14default_configENS1_25transform_config_selectorImLb0EEEZNS1_14transform_implILb0ES3_S5_NS0_17constant_iteratorImlEEPmNS0_8identityImEEEE10hipError_tT2_T3_mT4_P12ihipStream_tbEUlT_E_NS1_11comp_targetILNS1_3genE10ELNS1_11target_archE1200ELNS1_3gpuE4ELNS1_3repE0EEENS1_30default_config_static_selectorELNS0_4arch9wavefront6targetE0EEEvT1_,comdat
	.protected	_ZN7rocprim17ROCPRIM_400000_NS6detail17trampoline_kernelINS0_14default_configENS1_25transform_config_selectorImLb0EEEZNS1_14transform_implILb0ES3_S5_NS0_17constant_iteratorImlEEPmNS0_8identityImEEEE10hipError_tT2_T3_mT4_P12ihipStream_tbEUlT_E_NS1_11comp_targetILNS1_3genE10ELNS1_11target_archE1200ELNS1_3gpuE4ELNS1_3repE0EEENS1_30default_config_static_selectorELNS0_4arch9wavefront6targetE0EEEvT1_ ; -- Begin function _ZN7rocprim17ROCPRIM_400000_NS6detail17trampoline_kernelINS0_14default_configENS1_25transform_config_selectorImLb0EEEZNS1_14transform_implILb0ES3_S5_NS0_17constant_iteratorImlEEPmNS0_8identityImEEEE10hipError_tT2_T3_mT4_P12ihipStream_tbEUlT_E_NS1_11comp_targetILNS1_3genE10ELNS1_11target_archE1200ELNS1_3gpuE4ELNS1_3repE0EEENS1_30default_config_static_selectorELNS0_4arch9wavefront6targetE0EEEvT1_
	.globl	_ZN7rocprim17ROCPRIM_400000_NS6detail17trampoline_kernelINS0_14default_configENS1_25transform_config_selectorImLb0EEEZNS1_14transform_implILb0ES3_S5_NS0_17constant_iteratorImlEEPmNS0_8identityImEEEE10hipError_tT2_T3_mT4_P12ihipStream_tbEUlT_E_NS1_11comp_targetILNS1_3genE10ELNS1_11target_archE1200ELNS1_3gpuE4ELNS1_3repE0EEENS1_30default_config_static_selectorELNS0_4arch9wavefront6targetE0EEEvT1_
	.p2align	8
	.type	_ZN7rocprim17ROCPRIM_400000_NS6detail17trampoline_kernelINS0_14default_configENS1_25transform_config_selectorImLb0EEEZNS1_14transform_implILb0ES3_S5_NS0_17constant_iteratorImlEEPmNS0_8identityImEEEE10hipError_tT2_T3_mT4_P12ihipStream_tbEUlT_E_NS1_11comp_targetILNS1_3genE10ELNS1_11target_archE1200ELNS1_3gpuE4ELNS1_3repE0EEENS1_30default_config_static_selectorELNS0_4arch9wavefront6targetE0EEEvT1_,@function
_ZN7rocprim17ROCPRIM_400000_NS6detail17trampoline_kernelINS0_14default_configENS1_25transform_config_selectorImLb0EEEZNS1_14transform_implILb0ES3_S5_NS0_17constant_iteratorImlEEPmNS0_8identityImEEEE10hipError_tT2_T3_mT4_P12ihipStream_tbEUlT_E_NS1_11comp_targetILNS1_3genE10ELNS1_11target_archE1200ELNS1_3gpuE4ELNS1_3repE0EEENS1_30default_config_static_selectorELNS0_4arch9wavefront6targetE0EEEvT1_: ; @_ZN7rocprim17ROCPRIM_400000_NS6detail17trampoline_kernelINS0_14default_configENS1_25transform_config_selectorImLb0EEEZNS1_14transform_implILb0ES3_S5_NS0_17constant_iteratorImlEEPmNS0_8identityImEEEE10hipError_tT2_T3_mT4_P12ihipStream_tbEUlT_E_NS1_11comp_targetILNS1_3genE10ELNS1_11target_archE1200ELNS1_3gpuE4ELNS1_3repE0EEENS1_30default_config_static_selectorELNS0_4arch9wavefront6targetE0EEEvT1_
; %bb.0:
	.section	.rodata,"a",@progbits
	.p2align	6, 0x0
	.amdhsa_kernel _ZN7rocprim17ROCPRIM_400000_NS6detail17trampoline_kernelINS0_14default_configENS1_25transform_config_selectorImLb0EEEZNS1_14transform_implILb0ES3_S5_NS0_17constant_iteratorImlEEPmNS0_8identityImEEEE10hipError_tT2_T3_mT4_P12ihipStream_tbEUlT_E_NS1_11comp_targetILNS1_3genE10ELNS1_11target_archE1200ELNS1_3gpuE4ELNS1_3repE0EEENS1_30default_config_static_selectorELNS0_4arch9wavefront6targetE0EEEvT1_
		.amdhsa_group_segment_fixed_size 0
		.amdhsa_private_segment_fixed_size 0
		.amdhsa_kernarg_size 48
		.amdhsa_user_sgpr_count 6
		.amdhsa_user_sgpr_private_segment_buffer 1
		.amdhsa_user_sgpr_dispatch_ptr 0
		.amdhsa_user_sgpr_queue_ptr 0
		.amdhsa_user_sgpr_kernarg_segment_ptr 1
		.amdhsa_user_sgpr_dispatch_id 0
		.amdhsa_user_sgpr_flat_scratch_init 0
		.amdhsa_user_sgpr_private_segment_size 0
		.amdhsa_wavefront_size32 1
		.amdhsa_uses_dynamic_stack 0
		.amdhsa_system_sgpr_private_segment_wavefront_offset 0
		.amdhsa_system_sgpr_workgroup_id_x 1
		.amdhsa_system_sgpr_workgroup_id_y 0
		.amdhsa_system_sgpr_workgroup_id_z 0
		.amdhsa_system_sgpr_workgroup_info 0
		.amdhsa_system_vgpr_workitem_id 0
		.amdhsa_next_free_vgpr 1
		.amdhsa_next_free_sgpr 1
		.amdhsa_reserve_vcc 0
		.amdhsa_reserve_flat_scratch 0
		.amdhsa_float_round_mode_32 0
		.amdhsa_float_round_mode_16_64 0
		.amdhsa_float_denorm_mode_32 3
		.amdhsa_float_denorm_mode_16_64 3
		.amdhsa_dx10_clamp 1
		.amdhsa_ieee_mode 1
		.amdhsa_fp16_overflow 0
		.amdhsa_workgroup_processor_mode 1
		.amdhsa_memory_ordered 1
		.amdhsa_forward_progress 1
		.amdhsa_shared_vgpr_count 0
		.amdhsa_exception_fp_ieee_invalid_op 0
		.amdhsa_exception_fp_denorm_src 0
		.amdhsa_exception_fp_ieee_div_zero 0
		.amdhsa_exception_fp_ieee_overflow 0
		.amdhsa_exception_fp_ieee_underflow 0
		.amdhsa_exception_fp_ieee_inexact 0
		.amdhsa_exception_int_div_zero 0
	.end_amdhsa_kernel
	.section	.text._ZN7rocprim17ROCPRIM_400000_NS6detail17trampoline_kernelINS0_14default_configENS1_25transform_config_selectorImLb0EEEZNS1_14transform_implILb0ES3_S5_NS0_17constant_iteratorImlEEPmNS0_8identityImEEEE10hipError_tT2_T3_mT4_P12ihipStream_tbEUlT_E_NS1_11comp_targetILNS1_3genE10ELNS1_11target_archE1200ELNS1_3gpuE4ELNS1_3repE0EEENS1_30default_config_static_selectorELNS0_4arch9wavefront6targetE0EEEvT1_,"axG",@progbits,_ZN7rocprim17ROCPRIM_400000_NS6detail17trampoline_kernelINS0_14default_configENS1_25transform_config_selectorImLb0EEEZNS1_14transform_implILb0ES3_S5_NS0_17constant_iteratorImlEEPmNS0_8identityImEEEE10hipError_tT2_T3_mT4_P12ihipStream_tbEUlT_E_NS1_11comp_targetILNS1_3genE10ELNS1_11target_archE1200ELNS1_3gpuE4ELNS1_3repE0EEENS1_30default_config_static_selectorELNS0_4arch9wavefront6targetE0EEEvT1_,comdat
.Lfunc_end7:
	.size	_ZN7rocprim17ROCPRIM_400000_NS6detail17trampoline_kernelINS0_14default_configENS1_25transform_config_selectorImLb0EEEZNS1_14transform_implILb0ES3_S5_NS0_17constant_iteratorImlEEPmNS0_8identityImEEEE10hipError_tT2_T3_mT4_P12ihipStream_tbEUlT_E_NS1_11comp_targetILNS1_3genE10ELNS1_11target_archE1200ELNS1_3gpuE4ELNS1_3repE0EEENS1_30default_config_static_selectorELNS0_4arch9wavefront6targetE0EEEvT1_, .Lfunc_end7-_ZN7rocprim17ROCPRIM_400000_NS6detail17trampoline_kernelINS0_14default_configENS1_25transform_config_selectorImLb0EEEZNS1_14transform_implILb0ES3_S5_NS0_17constant_iteratorImlEEPmNS0_8identityImEEEE10hipError_tT2_T3_mT4_P12ihipStream_tbEUlT_E_NS1_11comp_targetILNS1_3genE10ELNS1_11target_archE1200ELNS1_3gpuE4ELNS1_3repE0EEENS1_30default_config_static_selectorELNS0_4arch9wavefront6targetE0EEEvT1_
                                        ; -- End function
	.set _ZN7rocprim17ROCPRIM_400000_NS6detail17trampoline_kernelINS0_14default_configENS1_25transform_config_selectorImLb0EEEZNS1_14transform_implILb0ES3_S5_NS0_17constant_iteratorImlEEPmNS0_8identityImEEEE10hipError_tT2_T3_mT4_P12ihipStream_tbEUlT_E_NS1_11comp_targetILNS1_3genE10ELNS1_11target_archE1200ELNS1_3gpuE4ELNS1_3repE0EEENS1_30default_config_static_selectorELNS0_4arch9wavefront6targetE0EEEvT1_.num_vgpr, 0
	.set _ZN7rocprim17ROCPRIM_400000_NS6detail17trampoline_kernelINS0_14default_configENS1_25transform_config_selectorImLb0EEEZNS1_14transform_implILb0ES3_S5_NS0_17constant_iteratorImlEEPmNS0_8identityImEEEE10hipError_tT2_T3_mT4_P12ihipStream_tbEUlT_E_NS1_11comp_targetILNS1_3genE10ELNS1_11target_archE1200ELNS1_3gpuE4ELNS1_3repE0EEENS1_30default_config_static_selectorELNS0_4arch9wavefront6targetE0EEEvT1_.num_agpr, 0
	.set _ZN7rocprim17ROCPRIM_400000_NS6detail17trampoline_kernelINS0_14default_configENS1_25transform_config_selectorImLb0EEEZNS1_14transform_implILb0ES3_S5_NS0_17constant_iteratorImlEEPmNS0_8identityImEEEE10hipError_tT2_T3_mT4_P12ihipStream_tbEUlT_E_NS1_11comp_targetILNS1_3genE10ELNS1_11target_archE1200ELNS1_3gpuE4ELNS1_3repE0EEENS1_30default_config_static_selectorELNS0_4arch9wavefront6targetE0EEEvT1_.numbered_sgpr, 0
	.set _ZN7rocprim17ROCPRIM_400000_NS6detail17trampoline_kernelINS0_14default_configENS1_25transform_config_selectorImLb0EEEZNS1_14transform_implILb0ES3_S5_NS0_17constant_iteratorImlEEPmNS0_8identityImEEEE10hipError_tT2_T3_mT4_P12ihipStream_tbEUlT_E_NS1_11comp_targetILNS1_3genE10ELNS1_11target_archE1200ELNS1_3gpuE4ELNS1_3repE0EEENS1_30default_config_static_selectorELNS0_4arch9wavefront6targetE0EEEvT1_.num_named_barrier, 0
	.set _ZN7rocprim17ROCPRIM_400000_NS6detail17trampoline_kernelINS0_14default_configENS1_25transform_config_selectorImLb0EEEZNS1_14transform_implILb0ES3_S5_NS0_17constant_iteratorImlEEPmNS0_8identityImEEEE10hipError_tT2_T3_mT4_P12ihipStream_tbEUlT_E_NS1_11comp_targetILNS1_3genE10ELNS1_11target_archE1200ELNS1_3gpuE4ELNS1_3repE0EEENS1_30default_config_static_selectorELNS0_4arch9wavefront6targetE0EEEvT1_.private_seg_size, 0
	.set _ZN7rocprim17ROCPRIM_400000_NS6detail17trampoline_kernelINS0_14default_configENS1_25transform_config_selectorImLb0EEEZNS1_14transform_implILb0ES3_S5_NS0_17constant_iteratorImlEEPmNS0_8identityImEEEE10hipError_tT2_T3_mT4_P12ihipStream_tbEUlT_E_NS1_11comp_targetILNS1_3genE10ELNS1_11target_archE1200ELNS1_3gpuE4ELNS1_3repE0EEENS1_30default_config_static_selectorELNS0_4arch9wavefront6targetE0EEEvT1_.uses_vcc, 0
	.set _ZN7rocprim17ROCPRIM_400000_NS6detail17trampoline_kernelINS0_14default_configENS1_25transform_config_selectorImLb0EEEZNS1_14transform_implILb0ES3_S5_NS0_17constant_iteratorImlEEPmNS0_8identityImEEEE10hipError_tT2_T3_mT4_P12ihipStream_tbEUlT_E_NS1_11comp_targetILNS1_3genE10ELNS1_11target_archE1200ELNS1_3gpuE4ELNS1_3repE0EEENS1_30default_config_static_selectorELNS0_4arch9wavefront6targetE0EEEvT1_.uses_flat_scratch, 0
	.set _ZN7rocprim17ROCPRIM_400000_NS6detail17trampoline_kernelINS0_14default_configENS1_25transform_config_selectorImLb0EEEZNS1_14transform_implILb0ES3_S5_NS0_17constant_iteratorImlEEPmNS0_8identityImEEEE10hipError_tT2_T3_mT4_P12ihipStream_tbEUlT_E_NS1_11comp_targetILNS1_3genE10ELNS1_11target_archE1200ELNS1_3gpuE4ELNS1_3repE0EEENS1_30default_config_static_selectorELNS0_4arch9wavefront6targetE0EEEvT1_.has_dyn_sized_stack, 0
	.set _ZN7rocprim17ROCPRIM_400000_NS6detail17trampoline_kernelINS0_14default_configENS1_25transform_config_selectorImLb0EEEZNS1_14transform_implILb0ES3_S5_NS0_17constant_iteratorImlEEPmNS0_8identityImEEEE10hipError_tT2_T3_mT4_P12ihipStream_tbEUlT_E_NS1_11comp_targetILNS1_3genE10ELNS1_11target_archE1200ELNS1_3gpuE4ELNS1_3repE0EEENS1_30default_config_static_selectorELNS0_4arch9wavefront6targetE0EEEvT1_.has_recursion, 0
	.set _ZN7rocprim17ROCPRIM_400000_NS6detail17trampoline_kernelINS0_14default_configENS1_25transform_config_selectorImLb0EEEZNS1_14transform_implILb0ES3_S5_NS0_17constant_iteratorImlEEPmNS0_8identityImEEEE10hipError_tT2_T3_mT4_P12ihipStream_tbEUlT_E_NS1_11comp_targetILNS1_3genE10ELNS1_11target_archE1200ELNS1_3gpuE4ELNS1_3repE0EEENS1_30default_config_static_selectorELNS0_4arch9wavefront6targetE0EEEvT1_.has_indirect_call, 0
	.section	.AMDGPU.csdata,"",@progbits
; Kernel info:
; codeLenInByte = 0
; TotalNumSgprs: 0
; NumVgprs: 0
; ScratchSize: 0
; MemoryBound: 0
; FloatMode: 240
; IeeeMode: 1
; LDSByteSize: 0 bytes/workgroup (compile time only)
; SGPRBlocks: 0
; VGPRBlocks: 0
; NumSGPRsForWavesPerEU: 1
; NumVGPRsForWavesPerEU: 1
; Occupancy: 16
; WaveLimiterHint : 0
; COMPUTE_PGM_RSRC2:SCRATCH_EN: 0
; COMPUTE_PGM_RSRC2:USER_SGPR: 6
; COMPUTE_PGM_RSRC2:TRAP_HANDLER: 0
; COMPUTE_PGM_RSRC2:TGID_X_EN: 1
; COMPUTE_PGM_RSRC2:TGID_Y_EN: 0
; COMPUTE_PGM_RSRC2:TGID_Z_EN: 0
; COMPUTE_PGM_RSRC2:TIDIG_COMP_CNT: 0
	.section	.text._ZN7rocprim17ROCPRIM_400000_NS6detail17trampoline_kernelINS0_14default_configENS1_25transform_config_selectorImLb0EEEZNS1_14transform_implILb0ES3_S5_NS0_17constant_iteratorImlEEPmNS0_8identityImEEEE10hipError_tT2_T3_mT4_P12ihipStream_tbEUlT_E_NS1_11comp_targetILNS1_3genE9ELNS1_11target_archE1100ELNS1_3gpuE3ELNS1_3repE0EEENS1_30default_config_static_selectorELNS0_4arch9wavefront6targetE0EEEvT1_,"axG",@progbits,_ZN7rocprim17ROCPRIM_400000_NS6detail17trampoline_kernelINS0_14default_configENS1_25transform_config_selectorImLb0EEEZNS1_14transform_implILb0ES3_S5_NS0_17constant_iteratorImlEEPmNS0_8identityImEEEE10hipError_tT2_T3_mT4_P12ihipStream_tbEUlT_E_NS1_11comp_targetILNS1_3genE9ELNS1_11target_archE1100ELNS1_3gpuE3ELNS1_3repE0EEENS1_30default_config_static_selectorELNS0_4arch9wavefront6targetE0EEEvT1_,comdat
	.protected	_ZN7rocprim17ROCPRIM_400000_NS6detail17trampoline_kernelINS0_14default_configENS1_25transform_config_selectorImLb0EEEZNS1_14transform_implILb0ES3_S5_NS0_17constant_iteratorImlEEPmNS0_8identityImEEEE10hipError_tT2_T3_mT4_P12ihipStream_tbEUlT_E_NS1_11comp_targetILNS1_3genE9ELNS1_11target_archE1100ELNS1_3gpuE3ELNS1_3repE0EEENS1_30default_config_static_selectorELNS0_4arch9wavefront6targetE0EEEvT1_ ; -- Begin function _ZN7rocprim17ROCPRIM_400000_NS6detail17trampoline_kernelINS0_14default_configENS1_25transform_config_selectorImLb0EEEZNS1_14transform_implILb0ES3_S5_NS0_17constant_iteratorImlEEPmNS0_8identityImEEEE10hipError_tT2_T3_mT4_P12ihipStream_tbEUlT_E_NS1_11comp_targetILNS1_3genE9ELNS1_11target_archE1100ELNS1_3gpuE3ELNS1_3repE0EEENS1_30default_config_static_selectorELNS0_4arch9wavefront6targetE0EEEvT1_
	.globl	_ZN7rocprim17ROCPRIM_400000_NS6detail17trampoline_kernelINS0_14default_configENS1_25transform_config_selectorImLb0EEEZNS1_14transform_implILb0ES3_S5_NS0_17constant_iteratorImlEEPmNS0_8identityImEEEE10hipError_tT2_T3_mT4_P12ihipStream_tbEUlT_E_NS1_11comp_targetILNS1_3genE9ELNS1_11target_archE1100ELNS1_3gpuE3ELNS1_3repE0EEENS1_30default_config_static_selectorELNS0_4arch9wavefront6targetE0EEEvT1_
	.p2align	8
	.type	_ZN7rocprim17ROCPRIM_400000_NS6detail17trampoline_kernelINS0_14default_configENS1_25transform_config_selectorImLb0EEEZNS1_14transform_implILb0ES3_S5_NS0_17constant_iteratorImlEEPmNS0_8identityImEEEE10hipError_tT2_T3_mT4_P12ihipStream_tbEUlT_E_NS1_11comp_targetILNS1_3genE9ELNS1_11target_archE1100ELNS1_3gpuE3ELNS1_3repE0EEENS1_30default_config_static_selectorELNS0_4arch9wavefront6targetE0EEEvT1_,@function
_ZN7rocprim17ROCPRIM_400000_NS6detail17trampoline_kernelINS0_14default_configENS1_25transform_config_selectorImLb0EEEZNS1_14transform_implILb0ES3_S5_NS0_17constant_iteratorImlEEPmNS0_8identityImEEEE10hipError_tT2_T3_mT4_P12ihipStream_tbEUlT_E_NS1_11comp_targetILNS1_3genE9ELNS1_11target_archE1100ELNS1_3gpuE3ELNS1_3repE0EEENS1_30default_config_static_selectorELNS0_4arch9wavefront6targetE0EEEvT1_: ; @_ZN7rocprim17ROCPRIM_400000_NS6detail17trampoline_kernelINS0_14default_configENS1_25transform_config_selectorImLb0EEEZNS1_14transform_implILb0ES3_S5_NS0_17constant_iteratorImlEEPmNS0_8identityImEEEE10hipError_tT2_T3_mT4_P12ihipStream_tbEUlT_E_NS1_11comp_targetILNS1_3genE9ELNS1_11target_archE1100ELNS1_3gpuE3ELNS1_3repE0EEENS1_30default_config_static_selectorELNS0_4arch9wavefront6targetE0EEEvT1_
; %bb.0:
	.section	.rodata,"a",@progbits
	.p2align	6, 0x0
	.amdhsa_kernel _ZN7rocprim17ROCPRIM_400000_NS6detail17trampoline_kernelINS0_14default_configENS1_25transform_config_selectorImLb0EEEZNS1_14transform_implILb0ES3_S5_NS0_17constant_iteratorImlEEPmNS0_8identityImEEEE10hipError_tT2_T3_mT4_P12ihipStream_tbEUlT_E_NS1_11comp_targetILNS1_3genE9ELNS1_11target_archE1100ELNS1_3gpuE3ELNS1_3repE0EEENS1_30default_config_static_selectorELNS0_4arch9wavefront6targetE0EEEvT1_
		.amdhsa_group_segment_fixed_size 0
		.amdhsa_private_segment_fixed_size 0
		.amdhsa_kernarg_size 48
		.amdhsa_user_sgpr_count 6
		.amdhsa_user_sgpr_private_segment_buffer 1
		.amdhsa_user_sgpr_dispatch_ptr 0
		.amdhsa_user_sgpr_queue_ptr 0
		.amdhsa_user_sgpr_kernarg_segment_ptr 1
		.amdhsa_user_sgpr_dispatch_id 0
		.amdhsa_user_sgpr_flat_scratch_init 0
		.amdhsa_user_sgpr_private_segment_size 0
		.amdhsa_wavefront_size32 1
		.amdhsa_uses_dynamic_stack 0
		.amdhsa_system_sgpr_private_segment_wavefront_offset 0
		.amdhsa_system_sgpr_workgroup_id_x 1
		.amdhsa_system_sgpr_workgroup_id_y 0
		.amdhsa_system_sgpr_workgroup_id_z 0
		.amdhsa_system_sgpr_workgroup_info 0
		.amdhsa_system_vgpr_workitem_id 0
		.amdhsa_next_free_vgpr 1
		.amdhsa_next_free_sgpr 1
		.amdhsa_reserve_vcc 0
		.amdhsa_reserve_flat_scratch 0
		.amdhsa_float_round_mode_32 0
		.amdhsa_float_round_mode_16_64 0
		.amdhsa_float_denorm_mode_32 3
		.amdhsa_float_denorm_mode_16_64 3
		.amdhsa_dx10_clamp 1
		.amdhsa_ieee_mode 1
		.amdhsa_fp16_overflow 0
		.amdhsa_workgroup_processor_mode 1
		.amdhsa_memory_ordered 1
		.amdhsa_forward_progress 1
		.amdhsa_shared_vgpr_count 0
		.amdhsa_exception_fp_ieee_invalid_op 0
		.amdhsa_exception_fp_denorm_src 0
		.amdhsa_exception_fp_ieee_div_zero 0
		.amdhsa_exception_fp_ieee_overflow 0
		.amdhsa_exception_fp_ieee_underflow 0
		.amdhsa_exception_fp_ieee_inexact 0
		.amdhsa_exception_int_div_zero 0
	.end_amdhsa_kernel
	.section	.text._ZN7rocprim17ROCPRIM_400000_NS6detail17trampoline_kernelINS0_14default_configENS1_25transform_config_selectorImLb0EEEZNS1_14transform_implILb0ES3_S5_NS0_17constant_iteratorImlEEPmNS0_8identityImEEEE10hipError_tT2_T3_mT4_P12ihipStream_tbEUlT_E_NS1_11comp_targetILNS1_3genE9ELNS1_11target_archE1100ELNS1_3gpuE3ELNS1_3repE0EEENS1_30default_config_static_selectorELNS0_4arch9wavefront6targetE0EEEvT1_,"axG",@progbits,_ZN7rocprim17ROCPRIM_400000_NS6detail17trampoline_kernelINS0_14default_configENS1_25transform_config_selectorImLb0EEEZNS1_14transform_implILb0ES3_S5_NS0_17constant_iteratorImlEEPmNS0_8identityImEEEE10hipError_tT2_T3_mT4_P12ihipStream_tbEUlT_E_NS1_11comp_targetILNS1_3genE9ELNS1_11target_archE1100ELNS1_3gpuE3ELNS1_3repE0EEENS1_30default_config_static_selectorELNS0_4arch9wavefront6targetE0EEEvT1_,comdat
.Lfunc_end8:
	.size	_ZN7rocprim17ROCPRIM_400000_NS6detail17trampoline_kernelINS0_14default_configENS1_25transform_config_selectorImLb0EEEZNS1_14transform_implILb0ES3_S5_NS0_17constant_iteratorImlEEPmNS0_8identityImEEEE10hipError_tT2_T3_mT4_P12ihipStream_tbEUlT_E_NS1_11comp_targetILNS1_3genE9ELNS1_11target_archE1100ELNS1_3gpuE3ELNS1_3repE0EEENS1_30default_config_static_selectorELNS0_4arch9wavefront6targetE0EEEvT1_, .Lfunc_end8-_ZN7rocprim17ROCPRIM_400000_NS6detail17trampoline_kernelINS0_14default_configENS1_25transform_config_selectorImLb0EEEZNS1_14transform_implILb0ES3_S5_NS0_17constant_iteratorImlEEPmNS0_8identityImEEEE10hipError_tT2_T3_mT4_P12ihipStream_tbEUlT_E_NS1_11comp_targetILNS1_3genE9ELNS1_11target_archE1100ELNS1_3gpuE3ELNS1_3repE0EEENS1_30default_config_static_selectorELNS0_4arch9wavefront6targetE0EEEvT1_
                                        ; -- End function
	.set _ZN7rocprim17ROCPRIM_400000_NS6detail17trampoline_kernelINS0_14default_configENS1_25transform_config_selectorImLb0EEEZNS1_14transform_implILb0ES3_S5_NS0_17constant_iteratorImlEEPmNS0_8identityImEEEE10hipError_tT2_T3_mT4_P12ihipStream_tbEUlT_E_NS1_11comp_targetILNS1_3genE9ELNS1_11target_archE1100ELNS1_3gpuE3ELNS1_3repE0EEENS1_30default_config_static_selectorELNS0_4arch9wavefront6targetE0EEEvT1_.num_vgpr, 0
	.set _ZN7rocprim17ROCPRIM_400000_NS6detail17trampoline_kernelINS0_14default_configENS1_25transform_config_selectorImLb0EEEZNS1_14transform_implILb0ES3_S5_NS0_17constant_iteratorImlEEPmNS0_8identityImEEEE10hipError_tT2_T3_mT4_P12ihipStream_tbEUlT_E_NS1_11comp_targetILNS1_3genE9ELNS1_11target_archE1100ELNS1_3gpuE3ELNS1_3repE0EEENS1_30default_config_static_selectorELNS0_4arch9wavefront6targetE0EEEvT1_.num_agpr, 0
	.set _ZN7rocprim17ROCPRIM_400000_NS6detail17trampoline_kernelINS0_14default_configENS1_25transform_config_selectorImLb0EEEZNS1_14transform_implILb0ES3_S5_NS0_17constant_iteratorImlEEPmNS0_8identityImEEEE10hipError_tT2_T3_mT4_P12ihipStream_tbEUlT_E_NS1_11comp_targetILNS1_3genE9ELNS1_11target_archE1100ELNS1_3gpuE3ELNS1_3repE0EEENS1_30default_config_static_selectorELNS0_4arch9wavefront6targetE0EEEvT1_.numbered_sgpr, 0
	.set _ZN7rocprim17ROCPRIM_400000_NS6detail17trampoline_kernelINS0_14default_configENS1_25transform_config_selectorImLb0EEEZNS1_14transform_implILb0ES3_S5_NS0_17constant_iteratorImlEEPmNS0_8identityImEEEE10hipError_tT2_T3_mT4_P12ihipStream_tbEUlT_E_NS1_11comp_targetILNS1_3genE9ELNS1_11target_archE1100ELNS1_3gpuE3ELNS1_3repE0EEENS1_30default_config_static_selectorELNS0_4arch9wavefront6targetE0EEEvT1_.num_named_barrier, 0
	.set _ZN7rocprim17ROCPRIM_400000_NS6detail17trampoline_kernelINS0_14default_configENS1_25transform_config_selectorImLb0EEEZNS1_14transform_implILb0ES3_S5_NS0_17constant_iteratorImlEEPmNS0_8identityImEEEE10hipError_tT2_T3_mT4_P12ihipStream_tbEUlT_E_NS1_11comp_targetILNS1_3genE9ELNS1_11target_archE1100ELNS1_3gpuE3ELNS1_3repE0EEENS1_30default_config_static_selectorELNS0_4arch9wavefront6targetE0EEEvT1_.private_seg_size, 0
	.set _ZN7rocprim17ROCPRIM_400000_NS6detail17trampoline_kernelINS0_14default_configENS1_25transform_config_selectorImLb0EEEZNS1_14transform_implILb0ES3_S5_NS0_17constant_iteratorImlEEPmNS0_8identityImEEEE10hipError_tT2_T3_mT4_P12ihipStream_tbEUlT_E_NS1_11comp_targetILNS1_3genE9ELNS1_11target_archE1100ELNS1_3gpuE3ELNS1_3repE0EEENS1_30default_config_static_selectorELNS0_4arch9wavefront6targetE0EEEvT1_.uses_vcc, 0
	.set _ZN7rocprim17ROCPRIM_400000_NS6detail17trampoline_kernelINS0_14default_configENS1_25transform_config_selectorImLb0EEEZNS1_14transform_implILb0ES3_S5_NS0_17constant_iteratorImlEEPmNS0_8identityImEEEE10hipError_tT2_T3_mT4_P12ihipStream_tbEUlT_E_NS1_11comp_targetILNS1_3genE9ELNS1_11target_archE1100ELNS1_3gpuE3ELNS1_3repE0EEENS1_30default_config_static_selectorELNS0_4arch9wavefront6targetE0EEEvT1_.uses_flat_scratch, 0
	.set _ZN7rocprim17ROCPRIM_400000_NS6detail17trampoline_kernelINS0_14default_configENS1_25transform_config_selectorImLb0EEEZNS1_14transform_implILb0ES3_S5_NS0_17constant_iteratorImlEEPmNS0_8identityImEEEE10hipError_tT2_T3_mT4_P12ihipStream_tbEUlT_E_NS1_11comp_targetILNS1_3genE9ELNS1_11target_archE1100ELNS1_3gpuE3ELNS1_3repE0EEENS1_30default_config_static_selectorELNS0_4arch9wavefront6targetE0EEEvT1_.has_dyn_sized_stack, 0
	.set _ZN7rocprim17ROCPRIM_400000_NS6detail17trampoline_kernelINS0_14default_configENS1_25transform_config_selectorImLb0EEEZNS1_14transform_implILb0ES3_S5_NS0_17constant_iteratorImlEEPmNS0_8identityImEEEE10hipError_tT2_T3_mT4_P12ihipStream_tbEUlT_E_NS1_11comp_targetILNS1_3genE9ELNS1_11target_archE1100ELNS1_3gpuE3ELNS1_3repE0EEENS1_30default_config_static_selectorELNS0_4arch9wavefront6targetE0EEEvT1_.has_recursion, 0
	.set _ZN7rocprim17ROCPRIM_400000_NS6detail17trampoline_kernelINS0_14default_configENS1_25transform_config_selectorImLb0EEEZNS1_14transform_implILb0ES3_S5_NS0_17constant_iteratorImlEEPmNS0_8identityImEEEE10hipError_tT2_T3_mT4_P12ihipStream_tbEUlT_E_NS1_11comp_targetILNS1_3genE9ELNS1_11target_archE1100ELNS1_3gpuE3ELNS1_3repE0EEENS1_30default_config_static_selectorELNS0_4arch9wavefront6targetE0EEEvT1_.has_indirect_call, 0
	.section	.AMDGPU.csdata,"",@progbits
; Kernel info:
; codeLenInByte = 0
; TotalNumSgprs: 0
; NumVgprs: 0
; ScratchSize: 0
; MemoryBound: 0
; FloatMode: 240
; IeeeMode: 1
; LDSByteSize: 0 bytes/workgroup (compile time only)
; SGPRBlocks: 0
; VGPRBlocks: 0
; NumSGPRsForWavesPerEU: 1
; NumVGPRsForWavesPerEU: 1
; Occupancy: 16
; WaveLimiterHint : 0
; COMPUTE_PGM_RSRC2:SCRATCH_EN: 0
; COMPUTE_PGM_RSRC2:USER_SGPR: 6
; COMPUTE_PGM_RSRC2:TRAP_HANDLER: 0
; COMPUTE_PGM_RSRC2:TGID_X_EN: 1
; COMPUTE_PGM_RSRC2:TGID_Y_EN: 0
; COMPUTE_PGM_RSRC2:TGID_Z_EN: 0
; COMPUTE_PGM_RSRC2:TIDIG_COMP_CNT: 0
	.section	.text._ZN7rocprim17ROCPRIM_400000_NS6detail17trampoline_kernelINS0_14default_configENS1_25transform_config_selectorImLb0EEEZNS1_14transform_implILb0ES3_S5_NS0_17constant_iteratorImlEEPmNS0_8identityImEEEE10hipError_tT2_T3_mT4_P12ihipStream_tbEUlT_E_NS1_11comp_targetILNS1_3genE8ELNS1_11target_archE1030ELNS1_3gpuE2ELNS1_3repE0EEENS1_30default_config_static_selectorELNS0_4arch9wavefront6targetE0EEEvT1_,"axG",@progbits,_ZN7rocprim17ROCPRIM_400000_NS6detail17trampoline_kernelINS0_14default_configENS1_25transform_config_selectorImLb0EEEZNS1_14transform_implILb0ES3_S5_NS0_17constant_iteratorImlEEPmNS0_8identityImEEEE10hipError_tT2_T3_mT4_P12ihipStream_tbEUlT_E_NS1_11comp_targetILNS1_3genE8ELNS1_11target_archE1030ELNS1_3gpuE2ELNS1_3repE0EEENS1_30default_config_static_selectorELNS0_4arch9wavefront6targetE0EEEvT1_,comdat
	.protected	_ZN7rocprim17ROCPRIM_400000_NS6detail17trampoline_kernelINS0_14default_configENS1_25transform_config_selectorImLb0EEEZNS1_14transform_implILb0ES3_S5_NS0_17constant_iteratorImlEEPmNS0_8identityImEEEE10hipError_tT2_T3_mT4_P12ihipStream_tbEUlT_E_NS1_11comp_targetILNS1_3genE8ELNS1_11target_archE1030ELNS1_3gpuE2ELNS1_3repE0EEENS1_30default_config_static_selectorELNS0_4arch9wavefront6targetE0EEEvT1_ ; -- Begin function _ZN7rocprim17ROCPRIM_400000_NS6detail17trampoline_kernelINS0_14default_configENS1_25transform_config_selectorImLb0EEEZNS1_14transform_implILb0ES3_S5_NS0_17constant_iteratorImlEEPmNS0_8identityImEEEE10hipError_tT2_T3_mT4_P12ihipStream_tbEUlT_E_NS1_11comp_targetILNS1_3genE8ELNS1_11target_archE1030ELNS1_3gpuE2ELNS1_3repE0EEENS1_30default_config_static_selectorELNS0_4arch9wavefront6targetE0EEEvT1_
	.globl	_ZN7rocprim17ROCPRIM_400000_NS6detail17trampoline_kernelINS0_14default_configENS1_25transform_config_selectorImLb0EEEZNS1_14transform_implILb0ES3_S5_NS0_17constant_iteratorImlEEPmNS0_8identityImEEEE10hipError_tT2_T3_mT4_P12ihipStream_tbEUlT_E_NS1_11comp_targetILNS1_3genE8ELNS1_11target_archE1030ELNS1_3gpuE2ELNS1_3repE0EEENS1_30default_config_static_selectorELNS0_4arch9wavefront6targetE0EEEvT1_
	.p2align	8
	.type	_ZN7rocprim17ROCPRIM_400000_NS6detail17trampoline_kernelINS0_14default_configENS1_25transform_config_selectorImLb0EEEZNS1_14transform_implILb0ES3_S5_NS0_17constant_iteratorImlEEPmNS0_8identityImEEEE10hipError_tT2_T3_mT4_P12ihipStream_tbEUlT_E_NS1_11comp_targetILNS1_3genE8ELNS1_11target_archE1030ELNS1_3gpuE2ELNS1_3repE0EEENS1_30default_config_static_selectorELNS0_4arch9wavefront6targetE0EEEvT1_,@function
_ZN7rocprim17ROCPRIM_400000_NS6detail17trampoline_kernelINS0_14default_configENS1_25transform_config_selectorImLb0EEEZNS1_14transform_implILb0ES3_S5_NS0_17constant_iteratorImlEEPmNS0_8identityImEEEE10hipError_tT2_T3_mT4_P12ihipStream_tbEUlT_E_NS1_11comp_targetILNS1_3genE8ELNS1_11target_archE1030ELNS1_3gpuE2ELNS1_3repE0EEENS1_30default_config_static_selectorELNS0_4arch9wavefront6targetE0EEEvT1_: ; @_ZN7rocprim17ROCPRIM_400000_NS6detail17trampoline_kernelINS0_14default_configENS1_25transform_config_selectorImLb0EEEZNS1_14transform_implILb0ES3_S5_NS0_17constant_iteratorImlEEPmNS0_8identityImEEEE10hipError_tT2_T3_mT4_P12ihipStream_tbEUlT_E_NS1_11comp_targetILNS1_3genE8ELNS1_11target_archE1030ELNS1_3gpuE2ELNS1_3repE0EEENS1_30default_config_static_selectorELNS0_4arch9wavefront6targetE0EEEvT1_
; %bb.0:
	s_clause 0x3
	s_load_dwordx2 s[2:3], s[4:5], 0x10
	s_load_dwordx2 s[8:9], s[4:5], 0x20
	s_load_dword s12, s[4:5], 0x30
	s_load_dwordx2 s[0:1], s[4:5], 0x0
	v_lshlrev_b32_e32 v3, 3, v0
                                        ; implicit-def: $vgpr1_vgpr2
	s_waitcnt lgkmcnt(0)
	s_lshl_b64 s[10:11], s[2:3], 3
	s_mov_b32 s3, 0
	s_add_u32 s8, s8, s10
	s_addc_u32 s7, s9, s11
	s_add_i32 s12, s12, -1
	s_lshl_b32 s2, s6, 10
	s_mov_b32 s9, -1
	s_cmp_eq_u32 s6, s12
	s_mov_b32 s6, s3
	s_cbranch_scc0 .LBB9_4
; %bb.1:
	s_andn2_b32 vcc_lo, exec_lo, s9
	s_cbranch_vccz .LBB9_5
.LBB9_2:
	s_and_saveexec_b32 s2, s6
	s_cbranch_execnz .LBB9_8
.LBB9_3:
	s_endpgm
.LBB9_4:
	s_lshl_b64 s[10:11], s[2:3], 3
	v_mov_b32_e32 v5, s1
	s_add_u32 s10, s8, s10
	s_addc_u32 s11, s7, s11
	v_add_co_u32 v1, s6, s10, v3
	v_mov_b32_e32 v4, s0
	v_add_co_ci_u32_e64 v2, null, s11, 0, s6
	s_mov_b32 s6, -1
	global_store_dwordx2 v3, v[4:5], s[10:11]
	s_cbranch_execnz .LBB9_2
.LBB9_5:
	s_load_dword s6, s[4:5], 0x18
	s_lshl_b64 s[4:5], s[2:3], 3
	s_waitcnt lgkmcnt(0)
	s_sub_i32 s2, s6, s2
	s_add_u32 s3, s8, s4
	s_addc_u32 s4, s7, s5
	v_add_co_u32 v1, s3, s3, v3
	v_add_co_ci_u32_e64 v2, null, s4, 0, s3
	s_mov_b32 s3, exec_lo
	v_cmpx_gt_u32_e64 s2, v0
	s_cbranch_execz .LBB9_7
; %bb.6:
	v_mov_b32_e32 v4, s1
	v_mov_b32_e32 v3, s0
	global_store_dwordx2 v[1:2], v[3:4], off
.LBB9_7:
	s_or_b32 exec_lo, exec_lo, s3
	v_or_b32_e32 v0, 0x200, v0
	v_cmp_gt_u32_e64 s6, s2, v0
	s_and_saveexec_b32 s2, s6
	s_cbranch_execz .LBB9_3
.LBB9_8:
	v_add_co_u32 v0, vcc_lo, 0x1000, v1
	v_add_co_ci_u32_e64 v1, null, 0, v2, vcc_lo
	v_mov_b32_e32 v3, s1
	v_mov_b32_e32 v2, s0
	global_store_dwordx2 v[0:1], v[2:3], off
	s_endpgm
	.section	.rodata,"a",@progbits
	.p2align	6, 0x0
	.amdhsa_kernel _ZN7rocprim17ROCPRIM_400000_NS6detail17trampoline_kernelINS0_14default_configENS1_25transform_config_selectorImLb0EEEZNS1_14transform_implILb0ES3_S5_NS0_17constant_iteratorImlEEPmNS0_8identityImEEEE10hipError_tT2_T3_mT4_P12ihipStream_tbEUlT_E_NS1_11comp_targetILNS1_3genE8ELNS1_11target_archE1030ELNS1_3gpuE2ELNS1_3repE0EEENS1_30default_config_static_selectorELNS0_4arch9wavefront6targetE0EEEvT1_
		.amdhsa_group_segment_fixed_size 0
		.amdhsa_private_segment_fixed_size 0
		.amdhsa_kernarg_size 304
		.amdhsa_user_sgpr_count 6
		.amdhsa_user_sgpr_private_segment_buffer 1
		.amdhsa_user_sgpr_dispatch_ptr 0
		.amdhsa_user_sgpr_queue_ptr 0
		.amdhsa_user_sgpr_kernarg_segment_ptr 1
		.amdhsa_user_sgpr_dispatch_id 0
		.amdhsa_user_sgpr_flat_scratch_init 0
		.amdhsa_user_sgpr_private_segment_size 0
		.amdhsa_wavefront_size32 1
		.amdhsa_uses_dynamic_stack 0
		.amdhsa_system_sgpr_private_segment_wavefront_offset 0
		.amdhsa_system_sgpr_workgroup_id_x 1
		.amdhsa_system_sgpr_workgroup_id_y 0
		.amdhsa_system_sgpr_workgroup_id_z 0
		.amdhsa_system_sgpr_workgroup_info 0
		.amdhsa_system_vgpr_workitem_id 0
		.amdhsa_next_free_vgpr 6
		.amdhsa_next_free_sgpr 13
		.amdhsa_reserve_vcc 1
		.amdhsa_reserve_flat_scratch 0
		.amdhsa_float_round_mode_32 0
		.amdhsa_float_round_mode_16_64 0
		.amdhsa_float_denorm_mode_32 3
		.amdhsa_float_denorm_mode_16_64 3
		.amdhsa_dx10_clamp 1
		.amdhsa_ieee_mode 1
		.amdhsa_fp16_overflow 0
		.amdhsa_workgroup_processor_mode 1
		.amdhsa_memory_ordered 1
		.amdhsa_forward_progress 1
		.amdhsa_shared_vgpr_count 0
		.amdhsa_exception_fp_ieee_invalid_op 0
		.amdhsa_exception_fp_denorm_src 0
		.amdhsa_exception_fp_ieee_div_zero 0
		.amdhsa_exception_fp_ieee_overflow 0
		.amdhsa_exception_fp_ieee_underflow 0
		.amdhsa_exception_fp_ieee_inexact 0
		.amdhsa_exception_int_div_zero 0
	.end_amdhsa_kernel
	.section	.text._ZN7rocprim17ROCPRIM_400000_NS6detail17trampoline_kernelINS0_14default_configENS1_25transform_config_selectorImLb0EEEZNS1_14transform_implILb0ES3_S5_NS0_17constant_iteratorImlEEPmNS0_8identityImEEEE10hipError_tT2_T3_mT4_P12ihipStream_tbEUlT_E_NS1_11comp_targetILNS1_3genE8ELNS1_11target_archE1030ELNS1_3gpuE2ELNS1_3repE0EEENS1_30default_config_static_selectorELNS0_4arch9wavefront6targetE0EEEvT1_,"axG",@progbits,_ZN7rocprim17ROCPRIM_400000_NS6detail17trampoline_kernelINS0_14default_configENS1_25transform_config_selectorImLb0EEEZNS1_14transform_implILb0ES3_S5_NS0_17constant_iteratorImlEEPmNS0_8identityImEEEE10hipError_tT2_T3_mT4_P12ihipStream_tbEUlT_E_NS1_11comp_targetILNS1_3genE8ELNS1_11target_archE1030ELNS1_3gpuE2ELNS1_3repE0EEENS1_30default_config_static_selectorELNS0_4arch9wavefront6targetE0EEEvT1_,comdat
.Lfunc_end9:
	.size	_ZN7rocprim17ROCPRIM_400000_NS6detail17trampoline_kernelINS0_14default_configENS1_25transform_config_selectorImLb0EEEZNS1_14transform_implILb0ES3_S5_NS0_17constant_iteratorImlEEPmNS0_8identityImEEEE10hipError_tT2_T3_mT4_P12ihipStream_tbEUlT_E_NS1_11comp_targetILNS1_3genE8ELNS1_11target_archE1030ELNS1_3gpuE2ELNS1_3repE0EEENS1_30default_config_static_selectorELNS0_4arch9wavefront6targetE0EEEvT1_, .Lfunc_end9-_ZN7rocprim17ROCPRIM_400000_NS6detail17trampoline_kernelINS0_14default_configENS1_25transform_config_selectorImLb0EEEZNS1_14transform_implILb0ES3_S5_NS0_17constant_iteratorImlEEPmNS0_8identityImEEEE10hipError_tT2_T3_mT4_P12ihipStream_tbEUlT_E_NS1_11comp_targetILNS1_3genE8ELNS1_11target_archE1030ELNS1_3gpuE2ELNS1_3repE0EEENS1_30default_config_static_selectorELNS0_4arch9wavefront6targetE0EEEvT1_
                                        ; -- End function
	.set _ZN7rocprim17ROCPRIM_400000_NS6detail17trampoline_kernelINS0_14default_configENS1_25transform_config_selectorImLb0EEEZNS1_14transform_implILb0ES3_S5_NS0_17constant_iteratorImlEEPmNS0_8identityImEEEE10hipError_tT2_T3_mT4_P12ihipStream_tbEUlT_E_NS1_11comp_targetILNS1_3genE8ELNS1_11target_archE1030ELNS1_3gpuE2ELNS1_3repE0EEENS1_30default_config_static_selectorELNS0_4arch9wavefront6targetE0EEEvT1_.num_vgpr, 6
	.set _ZN7rocprim17ROCPRIM_400000_NS6detail17trampoline_kernelINS0_14default_configENS1_25transform_config_selectorImLb0EEEZNS1_14transform_implILb0ES3_S5_NS0_17constant_iteratorImlEEPmNS0_8identityImEEEE10hipError_tT2_T3_mT4_P12ihipStream_tbEUlT_E_NS1_11comp_targetILNS1_3genE8ELNS1_11target_archE1030ELNS1_3gpuE2ELNS1_3repE0EEENS1_30default_config_static_selectorELNS0_4arch9wavefront6targetE0EEEvT1_.num_agpr, 0
	.set _ZN7rocprim17ROCPRIM_400000_NS6detail17trampoline_kernelINS0_14default_configENS1_25transform_config_selectorImLb0EEEZNS1_14transform_implILb0ES3_S5_NS0_17constant_iteratorImlEEPmNS0_8identityImEEEE10hipError_tT2_T3_mT4_P12ihipStream_tbEUlT_E_NS1_11comp_targetILNS1_3genE8ELNS1_11target_archE1030ELNS1_3gpuE2ELNS1_3repE0EEENS1_30default_config_static_selectorELNS0_4arch9wavefront6targetE0EEEvT1_.numbered_sgpr, 13
	.set _ZN7rocprim17ROCPRIM_400000_NS6detail17trampoline_kernelINS0_14default_configENS1_25transform_config_selectorImLb0EEEZNS1_14transform_implILb0ES3_S5_NS0_17constant_iteratorImlEEPmNS0_8identityImEEEE10hipError_tT2_T3_mT4_P12ihipStream_tbEUlT_E_NS1_11comp_targetILNS1_3genE8ELNS1_11target_archE1030ELNS1_3gpuE2ELNS1_3repE0EEENS1_30default_config_static_selectorELNS0_4arch9wavefront6targetE0EEEvT1_.num_named_barrier, 0
	.set _ZN7rocprim17ROCPRIM_400000_NS6detail17trampoline_kernelINS0_14default_configENS1_25transform_config_selectorImLb0EEEZNS1_14transform_implILb0ES3_S5_NS0_17constant_iteratorImlEEPmNS0_8identityImEEEE10hipError_tT2_T3_mT4_P12ihipStream_tbEUlT_E_NS1_11comp_targetILNS1_3genE8ELNS1_11target_archE1030ELNS1_3gpuE2ELNS1_3repE0EEENS1_30default_config_static_selectorELNS0_4arch9wavefront6targetE0EEEvT1_.private_seg_size, 0
	.set _ZN7rocprim17ROCPRIM_400000_NS6detail17trampoline_kernelINS0_14default_configENS1_25transform_config_selectorImLb0EEEZNS1_14transform_implILb0ES3_S5_NS0_17constant_iteratorImlEEPmNS0_8identityImEEEE10hipError_tT2_T3_mT4_P12ihipStream_tbEUlT_E_NS1_11comp_targetILNS1_3genE8ELNS1_11target_archE1030ELNS1_3gpuE2ELNS1_3repE0EEENS1_30default_config_static_selectorELNS0_4arch9wavefront6targetE0EEEvT1_.uses_vcc, 1
	.set _ZN7rocprim17ROCPRIM_400000_NS6detail17trampoline_kernelINS0_14default_configENS1_25transform_config_selectorImLb0EEEZNS1_14transform_implILb0ES3_S5_NS0_17constant_iteratorImlEEPmNS0_8identityImEEEE10hipError_tT2_T3_mT4_P12ihipStream_tbEUlT_E_NS1_11comp_targetILNS1_3genE8ELNS1_11target_archE1030ELNS1_3gpuE2ELNS1_3repE0EEENS1_30default_config_static_selectorELNS0_4arch9wavefront6targetE0EEEvT1_.uses_flat_scratch, 0
	.set _ZN7rocprim17ROCPRIM_400000_NS6detail17trampoline_kernelINS0_14default_configENS1_25transform_config_selectorImLb0EEEZNS1_14transform_implILb0ES3_S5_NS0_17constant_iteratorImlEEPmNS0_8identityImEEEE10hipError_tT2_T3_mT4_P12ihipStream_tbEUlT_E_NS1_11comp_targetILNS1_3genE8ELNS1_11target_archE1030ELNS1_3gpuE2ELNS1_3repE0EEENS1_30default_config_static_selectorELNS0_4arch9wavefront6targetE0EEEvT1_.has_dyn_sized_stack, 0
	.set _ZN7rocprim17ROCPRIM_400000_NS6detail17trampoline_kernelINS0_14default_configENS1_25transform_config_selectorImLb0EEEZNS1_14transform_implILb0ES3_S5_NS0_17constant_iteratorImlEEPmNS0_8identityImEEEE10hipError_tT2_T3_mT4_P12ihipStream_tbEUlT_E_NS1_11comp_targetILNS1_3genE8ELNS1_11target_archE1030ELNS1_3gpuE2ELNS1_3repE0EEENS1_30default_config_static_selectorELNS0_4arch9wavefront6targetE0EEEvT1_.has_recursion, 0
	.set _ZN7rocprim17ROCPRIM_400000_NS6detail17trampoline_kernelINS0_14default_configENS1_25transform_config_selectorImLb0EEEZNS1_14transform_implILb0ES3_S5_NS0_17constant_iteratorImlEEPmNS0_8identityImEEEE10hipError_tT2_T3_mT4_P12ihipStream_tbEUlT_E_NS1_11comp_targetILNS1_3genE8ELNS1_11target_archE1030ELNS1_3gpuE2ELNS1_3repE0EEENS1_30default_config_static_selectorELNS0_4arch9wavefront6targetE0EEEvT1_.has_indirect_call, 0
	.section	.AMDGPU.csdata,"",@progbits
; Kernel info:
; codeLenInByte = 300
; TotalNumSgprs: 15
; NumVgprs: 6
; ScratchSize: 0
; MemoryBound: 0
; FloatMode: 240
; IeeeMode: 1
; LDSByteSize: 0 bytes/workgroup (compile time only)
; SGPRBlocks: 0
; VGPRBlocks: 0
; NumSGPRsForWavesPerEU: 15
; NumVGPRsForWavesPerEU: 6
; Occupancy: 16
; WaveLimiterHint : 0
; COMPUTE_PGM_RSRC2:SCRATCH_EN: 0
; COMPUTE_PGM_RSRC2:USER_SGPR: 6
; COMPUTE_PGM_RSRC2:TRAP_HANDLER: 0
; COMPUTE_PGM_RSRC2:TGID_X_EN: 1
; COMPUTE_PGM_RSRC2:TGID_Y_EN: 0
; COMPUTE_PGM_RSRC2:TGID_Z_EN: 0
; COMPUTE_PGM_RSRC2:TIDIG_COMP_CNT: 0
	.section	.text._ZN7rocprim17ROCPRIM_400000_NS6detail25reduce_by_key_init_kernelINS1_19lookback_scan_stateINS0_5tupleIJjiEEELb0ELb1EEEiNS1_16block_id_wrapperIjLb0EEEEEvT_jbjPmPT0_T1_,"axG",@progbits,_ZN7rocprim17ROCPRIM_400000_NS6detail25reduce_by_key_init_kernelINS1_19lookback_scan_stateINS0_5tupleIJjiEEELb0ELb1EEEiNS1_16block_id_wrapperIjLb0EEEEEvT_jbjPmPT0_T1_,comdat
	.protected	_ZN7rocprim17ROCPRIM_400000_NS6detail25reduce_by_key_init_kernelINS1_19lookback_scan_stateINS0_5tupleIJjiEEELb0ELb1EEEiNS1_16block_id_wrapperIjLb0EEEEEvT_jbjPmPT0_T1_ ; -- Begin function _ZN7rocprim17ROCPRIM_400000_NS6detail25reduce_by_key_init_kernelINS1_19lookback_scan_stateINS0_5tupleIJjiEEELb0ELb1EEEiNS1_16block_id_wrapperIjLb0EEEEEvT_jbjPmPT0_T1_
	.globl	_ZN7rocprim17ROCPRIM_400000_NS6detail25reduce_by_key_init_kernelINS1_19lookback_scan_stateINS0_5tupleIJjiEEELb0ELb1EEEiNS1_16block_id_wrapperIjLb0EEEEEvT_jbjPmPT0_T1_
	.p2align	8
	.type	_ZN7rocprim17ROCPRIM_400000_NS6detail25reduce_by_key_init_kernelINS1_19lookback_scan_stateINS0_5tupleIJjiEEELb0ELb1EEEiNS1_16block_id_wrapperIjLb0EEEEEvT_jbjPmPT0_T1_,@function
_ZN7rocprim17ROCPRIM_400000_NS6detail25reduce_by_key_init_kernelINS1_19lookback_scan_stateINS0_5tupleIJjiEEELb0ELb1EEEiNS1_16block_id_wrapperIjLb0EEEEEvT_jbjPmPT0_T1_: ; @_ZN7rocprim17ROCPRIM_400000_NS6detail25reduce_by_key_init_kernelINS1_19lookback_scan_stateINS0_5tupleIJjiEEELb0ELb1EEEiNS1_16block_id_wrapperIjLb0EEEEEvT_jbjPmPT0_T1_
; %bb.0:
	s_clause 0x2
	s_load_dword s2, s[4:5], 0x3c
	s_load_dwordx8 s[8:15], s[4:5], 0x8
	s_load_dwordx2 s[0:1], s[4:5], 0x0
	s_waitcnt lgkmcnt(0)
	s_and_b32 s2, s2, 0xffff
	v_mad_u64_u32 v[0:1], null, s6, s2, v[0:1]
	s_and_b32 s2, s9, 1
	s_cmp_eq_u32 s2, 0
	s_mov_b32 s2, -1
	s_cbranch_scc1 .LBB10_7
; %bb.1:
	s_andn2_b32 vcc_lo, exec_lo, s2
	s_cbranch_vccz .LBB10_14
.LBB10_2:
	s_mov_b32 s2, exec_lo
	v_cmpx_gt_u32_e64 s8, v0
	s_cbranch_execz .LBB10_4
.LBB10_3:
	v_add_nc_u32_e32 v1, 32, v0
	v_mov_b32_e32 v2, 0
	v_lshlrev_b64 v[4:5], 4, v[1:2]
	v_mov_b32_e32 v1, v2
	v_mov_b32_e32 v3, v2
	v_add_co_u32 v6, vcc_lo, s0, v4
	v_add_co_ci_u32_e64 v7, null, s1, v5, vcc_lo
	v_mov_b32_e32 v4, v2
	global_store_dwordx4 v[6:7], v[1:4], off
.LBB10_4:
	s_or_b32 exec_lo, exec_lo, s2
	s_mov_b32 s2, exec_lo
	v_cmpx_gt_u32_e32 32, v0
	s_cbranch_execz .LBB10_6
; %bb.5:
	v_mov_b32_e32 v1, 0
	v_mov_b32_e32 v2, 0xff
	v_lshlrev_b64 v[3:4], 4, v[0:1]
	v_mov_b32_e32 v0, v1
	v_add_co_u32 v5, vcc_lo, s0, v3
	v_add_co_ci_u32_e64 v6, null, s1, v4, vcc_lo
	v_mov_b32_e32 v3, v1
	global_store_dwordx4 v[5:6], v[0:3], off
.LBB10_6:
	s_endpgm
.LBB10_7:
	s_cmp_lt_u32 s10, s8
	s_mov_b32 s6, exec_lo
	s_cselect_b32 s2, s10, 0
	v_cmpx_eq_u32_e64 s2, v0
	s_cbranch_execz .LBB10_13
; %bb.8:
	s_add_i32 s2, s10, 32
	s_mov_b32 s3, 0
	v_mov_b32_e32 v5, 0
	s_lshl_b64 s[4:5], s[2:3], 4
	s_mov_b32 s2, exec_lo
	s_add_u32 s4, s0, s4
	s_addc_u32 s5, s1, s5
	v_mov_b32_e32 v1, s4
	v_mov_b32_e32 v2, s5
	;;#ASMSTART
	global_load_dwordx4 v[1:4], v[1:2] off glc dlc	
s_waitcnt vmcnt(0)
	;;#ASMEND
	v_and_b32_e32 v4, 0xff, v3
	v_cmpx_eq_u64_e32 0, v[4:5]
	s_cbranch_execz .LBB10_12
; %bb.9:
	v_mov_b32_e32 v7, s5
	v_mov_b32_e32 v6, s4
.LBB10_10:                              ; =>This Inner Loop Header: Depth=1
	;;#ASMSTART
	global_load_dwordx4 v[1:4], v[6:7] off glc dlc	
s_waitcnt vmcnt(0)
	;;#ASMEND
	v_and_b32_e32 v4, 0xff, v3
	v_cmp_ne_u64_e32 vcc_lo, 0, v[4:5]
	s_or_b32 s3, vcc_lo, s3
	s_andn2_b32 exec_lo, exec_lo, s3
	s_cbranch_execnz .LBB10_10
; %bb.11:
	s_or_b32 exec_lo, exec_lo, s3
.LBB10_12:
	s_or_b32 exec_lo, exec_lo, s2
	v_mov_b32_e32 v5, 0
	global_load_dwordx2 v[3:4], v5, s[12:13]
	s_waitcnt vmcnt(0)
	v_add_co_u32 v3, vcc_lo, v3, v1
	v_add_co_ci_u32_e64 v4, null, 0, v4, vcc_lo
	global_store_dwordx2 v5, v[3:4], s[12:13]
	global_store_dword v5, v2, s[14:15]
.LBB10_13:
	s_or_b32 exec_lo, exec_lo, s6
	s_cbranch_execnz .LBB10_2
.LBB10_14:
	v_cmp_eq_u32_e32 vcc_lo, 0, v0
	s_cmp_lg_u64 s[12:13], 0
	s_cselect_b32 s2, -1, 0
	s_and_b32 s3, s2, vcc_lo
	s_and_saveexec_b32 s2, s3
	s_cbranch_execz .LBB10_16
; %bb.15:
	v_mov_b32_e32 v1, 0
	v_mov_b32_e32 v2, v1
	global_store_dwordx2 v1, v[1:2], s[12:13]
.LBB10_16:
	s_or_b32 exec_lo, exec_lo, s2
	s_mov_b32 s2, exec_lo
	v_cmpx_gt_u32_e64 s8, v0
	s_cbranch_execnz .LBB10_3
	s_branch .LBB10_4
	.section	.rodata,"a",@progbits
	.p2align	6, 0x0
	.amdhsa_kernel _ZN7rocprim17ROCPRIM_400000_NS6detail25reduce_by_key_init_kernelINS1_19lookback_scan_stateINS0_5tupleIJjiEEELb0ELb1EEEiNS1_16block_id_wrapperIjLb0EEEEEvT_jbjPmPT0_T1_
		.amdhsa_group_segment_fixed_size 0
		.amdhsa_private_segment_fixed_size 0
		.amdhsa_kernarg_size 304
		.amdhsa_user_sgpr_count 6
		.amdhsa_user_sgpr_private_segment_buffer 1
		.amdhsa_user_sgpr_dispatch_ptr 0
		.amdhsa_user_sgpr_queue_ptr 0
		.amdhsa_user_sgpr_kernarg_segment_ptr 1
		.amdhsa_user_sgpr_dispatch_id 0
		.amdhsa_user_sgpr_flat_scratch_init 0
		.amdhsa_user_sgpr_private_segment_size 0
		.amdhsa_wavefront_size32 1
		.amdhsa_uses_dynamic_stack 0
		.amdhsa_system_sgpr_private_segment_wavefront_offset 0
		.amdhsa_system_sgpr_workgroup_id_x 1
		.amdhsa_system_sgpr_workgroup_id_y 0
		.amdhsa_system_sgpr_workgroup_id_z 0
		.amdhsa_system_sgpr_workgroup_info 0
		.amdhsa_system_vgpr_workitem_id 0
		.amdhsa_next_free_vgpr 8
		.amdhsa_next_free_sgpr 16
		.amdhsa_reserve_vcc 1
		.amdhsa_reserve_flat_scratch 0
		.amdhsa_float_round_mode_32 0
		.amdhsa_float_round_mode_16_64 0
		.amdhsa_float_denorm_mode_32 3
		.amdhsa_float_denorm_mode_16_64 3
		.amdhsa_dx10_clamp 1
		.amdhsa_ieee_mode 1
		.amdhsa_fp16_overflow 0
		.amdhsa_workgroup_processor_mode 1
		.amdhsa_memory_ordered 1
		.amdhsa_forward_progress 1
		.amdhsa_shared_vgpr_count 0
		.amdhsa_exception_fp_ieee_invalid_op 0
		.amdhsa_exception_fp_denorm_src 0
		.amdhsa_exception_fp_ieee_div_zero 0
		.amdhsa_exception_fp_ieee_overflow 0
		.amdhsa_exception_fp_ieee_underflow 0
		.amdhsa_exception_fp_ieee_inexact 0
		.amdhsa_exception_int_div_zero 0
	.end_amdhsa_kernel
	.section	.text._ZN7rocprim17ROCPRIM_400000_NS6detail25reduce_by_key_init_kernelINS1_19lookback_scan_stateINS0_5tupleIJjiEEELb0ELb1EEEiNS1_16block_id_wrapperIjLb0EEEEEvT_jbjPmPT0_T1_,"axG",@progbits,_ZN7rocprim17ROCPRIM_400000_NS6detail25reduce_by_key_init_kernelINS1_19lookback_scan_stateINS0_5tupleIJjiEEELb0ELb1EEEiNS1_16block_id_wrapperIjLb0EEEEEvT_jbjPmPT0_T1_,comdat
.Lfunc_end10:
	.size	_ZN7rocprim17ROCPRIM_400000_NS6detail25reduce_by_key_init_kernelINS1_19lookback_scan_stateINS0_5tupleIJjiEEELb0ELb1EEEiNS1_16block_id_wrapperIjLb0EEEEEvT_jbjPmPT0_T1_, .Lfunc_end10-_ZN7rocprim17ROCPRIM_400000_NS6detail25reduce_by_key_init_kernelINS1_19lookback_scan_stateINS0_5tupleIJjiEEELb0ELb1EEEiNS1_16block_id_wrapperIjLb0EEEEEvT_jbjPmPT0_T1_
                                        ; -- End function
	.set _ZN7rocprim17ROCPRIM_400000_NS6detail25reduce_by_key_init_kernelINS1_19lookback_scan_stateINS0_5tupleIJjiEEELb0ELb1EEEiNS1_16block_id_wrapperIjLb0EEEEEvT_jbjPmPT0_T1_.num_vgpr, 8
	.set _ZN7rocprim17ROCPRIM_400000_NS6detail25reduce_by_key_init_kernelINS1_19lookback_scan_stateINS0_5tupleIJjiEEELb0ELb1EEEiNS1_16block_id_wrapperIjLb0EEEEEvT_jbjPmPT0_T1_.num_agpr, 0
	.set _ZN7rocprim17ROCPRIM_400000_NS6detail25reduce_by_key_init_kernelINS1_19lookback_scan_stateINS0_5tupleIJjiEEELb0ELb1EEEiNS1_16block_id_wrapperIjLb0EEEEEvT_jbjPmPT0_T1_.numbered_sgpr, 16
	.set _ZN7rocprim17ROCPRIM_400000_NS6detail25reduce_by_key_init_kernelINS1_19lookback_scan_stateINS0_5tupleIJjiEEELb0ELb1EEEiNS1_16block_id_wrapperIjLb0EEEEEvT_jbjPmPT0_T1_.num_named_barrier, 0
	.set _ZN7rocprim17ROCPRIM_400000_NS6detail25reduce_by_key_init_kernelINS1_19lookback_scan_stateINS0_5tupleIJjiEEELb0ELb1EEEiNS1_16block_id_wrapperIjLb0EEEEEvT_jbjPmPT0_T1_.private_seg_size, 0
	.set _ZN7rocprim17ROCPRIM_400000_NS6detail25reduce_by_key_init_kernelINS1_19lookback_scan_stateINS0_5tupleIJjiEEELb0ELb1EEEiNS1_16block_id_wrapperIjLb0EEEEEvT_jbjPmPT0_T1_.uses_vcc, 1
	.set _ZN7rocprim17ROCPRIM_400000_NS6detail25reduce_by_key_init_kernelINS1_19lookback_scan_stateINS0_5tupleIJjiEEELb0ELb1EEEiNS1_16block_id_wrapperIjLb0EEEEEvT_jbjPmPT0_T1_.uses_flat_scratch, 0
	.set _ZN7rocprim17ROCPRIM_400000_NS6detail25reduce_by_key_init_kernelINS1_19lookback_scan_stateINS0_5tupleIJjiEEELb0ELb1EEEiNS1_16block_id_wrapperIjLb0EEEEEvT_jbjPmPT0_T1_.has_dyn_sized_stack, 0
	.set _ZN7rocprim17ROCPRIM_400000_NS6detail25reduce_by_key_init_kernelINS1_19lookback_scan_stateINS0_5tupleIJjiEEELb0ELb1EEEiNS1_16block_id_wrapperIjLb0EEEEEvT_jbjPmPT0_T1_.has_recursion, 0
	.set _ZN7rocprim17ROCPRIM_400000_NS6detail25reduce_by_key_init_kernelINS1_19lookback_scan_stateINS0_5tupleIJjiEEELb0ELb1EEEiNS1_16block_id_wrapperIjLb0EEEEEvT_jbjPmPT0_T1_.has_indirect_call, 0
	.section	.AMDGPU.csdata,"",@progbits
; Kernel info:
; codeLenInByte = 528
; TotalNumSgprs: 18
; NumVgprs: 8
; ScratchSize: 0
; MemoryBound: 0
; FloatMode: 240
; IeeeMode: 1
; LDSByteSize: 0 bytes/workgroup (compile time only)
; SGPRBlocks: 0
; VGPRBlocks: 0
; NumSGPRsForWavesPerEU: 18
; NumVGPRsForWavesPerEU: 8
; Occupancy: 16
; WaveLimiterHint : 0
; COMPUTE_PGM_RSRC2:SCRATCH_EN: 0
; COMPUTE_PGM_RSRC2:USER_SGPR: 6
; COMPUTE_PGM_RSRC2:TRAP_HANDLER: 0
; COMPUTE_PGM_RSRC2:TGID_X_EN: 1
; COMPUTE_PGM_RSRC2:TGID_Y_EN: 0
; COMPUTE_PGM_RSRC2:TGID_Z_EN: 0
; COMPUTE_PGM_RSRC2:TIDIG_COMP_CNT: 0
	.section	.text._ZN7rocprim17ROCPRIM_400000_NS6detail17trampoline_kernelINS0_14default_configENS1_29reduce_by_key_config_selectorIiiN6thrust23THRUST_200600_302600_NS4plusIiEEEEZZNS1_33reduce_by_key_impl_wrapped_configILNS1_25lookback_scan_determinismE0ES3_S9_NS6_18transform_iteratorI25linear_index_to_row_indexIiENS6_17counting_iteratorIiNS6_11use_defaultESG_SG_EESG_SG_EENS6_6detail15normal_iteratorINS6_10device_ptrIiEEEESN_SN_PmS8_NS6_8equal_toIiEEEE10hipError_tPvRmT2_T3_mT4_T5_T6_T7_T8_P12ihipStream_tbENKUlT_T0_E_clISt17integral_constantIbLb0EES18_EEDaS13_S14_EUlS13_E_NS1_11comp_targetILNS1_3genE0ELNS1_11target_archE4294967295ELNS1_3gpuE0ELNS1_3repE0EEENS1_30default_config_static_selectorELNS0_4arch9wavefront6targetE0EEEvT1_,"axG",@progbits,_ZN7rocprim17ROCPRIM_400000_NS6detail17trampoline_kernelINS0_14default_configENS1_29reduce_by_key_config_selectorIiiN6thrust23THRUST_200600_302600_NS4plusIiEEEEZZNS1_33reduce_by_key_impl_wrapped_configILNS1_25lookback_scan_determinismE0ES3_S9_NS6_18transform_iteratorI25linear_index_to_row_indexIiENS6_17counting_iteratorIiNS6_11use_defaultESG_SG_EESG_SG_EENS6_6detail15normal_iteratorINS6_10device_ptrIiEEEESN_SN_PmS8_NS6_8equal_toIiEEEE10hipError_tPvRmT2_T3_mT4_T5_T6_T7_T8_P12ihipStream_tbENKUlT_T0_E_clISt17integral_constantIbLb0EES18_EEDaS13_S14_EUlS13_E_NS1_11comp_targetILNS1_3genE0ELNS1_11target_archE4294967295ELNS1_3gpuE0ELNS1_3repE0EEENS1_30default_config_static_selectorELNS0_4arch9wavefront6targetE0EEEvT1_,comdat
	.protected	_ZN7rocprim17ROCPRIM_400000_NS6detail17trampoline_kernelINS0_14default_configENS1_29reduce_by_key_config_selectorIiiN6thrust23THRUST_200600_302600_NS4plusIiEEEEZZNS1_33reduce_by_key_impl_wrapped_configILNS1_25lookback_scan_determinismE0ES3_S9_NS6_18transform_iteratorI25linear_index_to_row_indexIiENS6_17counting_iteratorIiNS6_11use_defaultESG_SG_EESG_SG_EENS6_6detail15normal_iteratorINS6_10device_ptrIiEEEESN_SN_PmS8_NS6_8equal_toIiEEEE10hipError_tPvRmT2_T3_mT4_T5_T6_T7_T8_P12ihipStream_tbENKUlT_T0_E_clISt17integral_constantIbLb0EES18_EEDaS13_S14_EUlS13_E_NS1_11comp_targetILNS1_3genE0ELNS1_11target_archE4294967295ELNS1_3gpuE0ELNS1_3repE0EEENS1_30default_config_static_selectorELNS0_4arch9wavefront6targetE0EEEvT1_ ; -- Begin function _ZN7rocprim17ROCPRIM_400000_NS6detail17trampoline_kernelINS0_14default_configENS1_29reduce_by_key_config_selectorIiiN6thrust23THRUST_200600_302600_NS4plusIiEEEEZZNS1_33reduce_by_key_impl_wrapped_configILNS1_25lookback_scan_determinismE0ES3_S9_NS6_18transform_iteratorI25linear_index_to_row_indexIiENS6_17counting_iteratorIiNS6_11use_defaultESG_SG_EESG_SG_EENS6_6detail15normal_iteratorINS6_10device_ptrIiEEEESN_SN_PmS8_NS6_8equal_toIiEEEE10hipError_tPvRmT2_T3_mT4_T5_T6_T7_T8_P12ihipStream_tbENKUlT_T0_E_clISt17integral_constantIbLb0EES18_EEDaS13_S14_EUlS13_E_NS1_11comp_targetILNS1_3genE0ELNS1_11target_archE4294967295ELNS1_3gpuE0ELNS1_3repE0EEENS1_30default_config_static_selectorELNS0_4arch9wavefront6targetE0EEEvT1_
	.globl	_ZN7rocprim17ROCPRIM_400000_NS6detail17trampoline_kernelINS0_14default_configENS1_29reduce_by_key_config_selectorIiiN6thrust23THRUST_200600_302600_NS4plusIiEEEEZZNS1_33reduce_by_key_impl_wrapped_configILNS1_25lookback_scan_determinismE0ES3_S9_NS6_18transform_iteratorI25linear_index_to_row_indexIiENS6_17counting_iteratorIiNS6_11use_defaultESG_SG_EESG_SG_EENS6_6detail15normal_iteratorINS6_10device_ptrIiEEEESN_SN_PmS8_NS6_8equal_toIiEEEE10hipError_tPvRmT2_T3_mT4_T5_T6_T7_T8_P12ihipStream_tbENKUlT_T0_E_clISt17integral_constantIbLb0EES18_EEDaS13_S14_EUlS13_E_NS1_11comp_targetILNS1_3genE0ELNS1_11target_archE4294967295ELNS1_3gpuE0ELNS1_3repE0EEENS1_30default_config_static_selectorELNS0_4arch9wavefront6targetE0EEEvT1_
	.p2align	8
	.type	_ZN7rocprim17ROCPRIM_400000_NS6detail17trampoline_kernelINS0_14default_configENS1_29reduce_by_key_config_selectorIiiN6thrust23THRUST_200600_302600_NS4plusIiEEEEZZNS1_33reduce_by_key_impl_wrapped_configILNS1_25lookback_scan_determinismE0ES3_S9_NS6_18transform_iteratorI25linear_index_to_row_indexIiENS6_17counting_iteratorIiNS6_11use_defaultESG_SG_EESG_SG_EENS6_6detail15normal_iteratorINS6_10device_ptrIiEEEESN_SN_PmS8_NS6_8equal_toIiEEEE10hipError_tPvRmT2_T3_mT4_T5_T6_T7_T8_P12ihipStream_tbENKUlT_T0_E_clISt17integral_constantIbLb0EES18_EEDaS13_S14_EUlS13_E_NS1_11comp_targetILNS1_3genE0ELNS1_11target_archE4294967295ELNS1_3gpuE0ELNS1_3repE0EEENS1_30default_config_static_selectorELNS0_4arch9wavefront6targetE0EEEvT1_,@function
_ZN7rocprim17ROCPRIM_400000_NS6detail17trampoline_kernelINS0_14default_configENS1_29reduce_by_key_config_selectorIiiN6thrust23THRUST_200600_302600_NS4plusIiEEEEZZNS1_33reduce_by_key_impl_wrapped_configILNS1_25lookback_scan_determinismE0ES3_S9_NS6_18transform_iteratorI25linear_index_to_row_indexIiENS6_17counting_iteratorIiNS6_11use_defaultESG_SG_EESG_SG_EENS6_6detail15normal_iteratorINS6_10device_ptrIiEEEESN_SN_PmS8_NS6_8equal_toIiEEEE10hipError_tPvRmT2_T3_mT4_T5_T6_T7_T8_P12ihipStream_tbENKUlT_T0_E_clISt17integral_constantIbLb0EES18_EEDaS13_S14_EUlS13_E_NS1_11comp_targetILNS1_3genE0ELNS1_11target_archE4294967295ELNS1_3gpuE0ELNS1_3repE0EEENS1_30default_config_static_selectorELNS0_4arch9wavefront6targetE0EEEvT1_: ; @_ZN7rocprim17ROCPRIM_400000_NS6detail17trampoline_kernelINS0_14default_configENS1_29reduce_by_key_config_selectorIiiN6thrust23THRUST_200600_302600_NS4plusIiEEEEZZNS1_33reduce_by_key_impl_wrapped_configILNS1_25lookback_scan_determinismE0ES3_S9_NS6_18transform_iteratorI25linear_index_to_row_indexIiENS6_17counting_iteratorIiNS6_11use_defaultESG_SG_EESG_SG_EENS6_6detail15normal_iteratorINS6_10device_ptrIiEEEESN_SN_PmS8_NS6_8equal_toIiEEEE10hipError_tPvRmT2_T3_mT4_T5_T6_T7_T8_P12ihipStream_tbENKUlT_T0_E_clISt17integral_constantIbLb0EES18_EEDaS13_S14_EUlS13_E_NS1_11comp_targetILNS1_3genE0ELNS1_11target_archE4294967295ELNS1_3gpuE0ELNS1_3repE0EEENS1_30default_config_static_selectorELNS0_4arch9wavefront6targetE0EEEvT1_
; %bb.0:
	.section	.rodata,"a",@progbits
	.p2align	6, 0x0
	.amdhsa_kernel _ZN7rocprim17ROCPRIM_400000_NS6detail17trampoline_kernelINS0_14default_configENS1_29reduce_by_key_config_selectorIiiN6thrust23THRUST_200600_302600_NS4plusIiEEEEZZNS1_33reduce_by_key_impl_wrapped_configILNS1_25lookback_scan_determinismE0ES3_S9_NS6_18transform_iteratorI25linear_index_to_row_indexIiENS6_17counting_iteratorIiNS6_11use_defaultESG_SG_EESG_SG_EENS6_6detail15normal_iteratorINS6_10device_ptrIiEEEESN_SN_PmS8_NS6_8equal_toIiEEEE10hipError_tPvRmT2_T3_mT4_T5_T6_T7_T8_P12ihipStream_tbENKUlT_T0_E_clISt17integral_constantIbLb0EES18_EEDaS13_S14_EUlS13_E_NS1_11comp_targetILNS1_3genE0ELNS1_11target_archE4294967295ELNS1_3gpuE0ELNS1_3repE0EEENS1_30default_config_static_selectorELNS0_4arch9wavefront6targetE0EEEvT1_
		.amdhsa_group_segment_fixed_size 0
		.amdhsa_private_segment_fixed_size 0
		.amdhsa_kernarg_size 120
		.amdhsa_user_sgpr_count 6
		.amdhsa_user_sgpr_private_segment_buffer 1
		.amdhsa_user_sgpr_dispatch_ptr 0
		.amdhsa_user_sgpr_queue_ptr 0
		.amdhsa_user_sgpr_kernarg_segment_ptr 1
		.amdhsa_user_sgpr_dispatch_id 0
		.amdhsa_user_sgpr_flat_scratch_init 0
		.amdhsa_user_sgpr_private_segment_size 0
		.amdhsa_wavefront_size32 1
		.amdhsa_uses_dynamic_stack 0
		.amdhsa_system_sgpr_private_segment_wavefront_offset 0
		.amdhsa_system_sgpr_workgroup_id_x 1
		.amdhsa_system_sgpr_workgroup_id_y 0
		.amdhsa_system_sgpr_workgroup_id_z 0
		.amdhsa_system_sgpr_workgroup_info 0
		.amdhsa_system_vgpr_workitem_id 0
		.amdhsa_next_free_vgpr 1
		.amdhsa_next_free_sgpr 1
		.amdhsa_reserve_vcc 0
		.amdhsa_reserve_flat_scratch 0
		.amdhsa_float_round_mode_32 0
		.amdhsa_float_round_mode_16_64 0
		.amdhsa_float_denorm_mode_32 3
		.amdhsa_float_denorm_mode_16_64 3
		.amdhsa_dx10_clamp 1
		.amdhsa_ieee_mode 1
		.amdhsa_fp16_overflow 0
		.amdhsa_workgroup_processor_mode 1
		.amdhsa_memory_ordered 1
		.amdhsa_forward_progress 1
		.amdhsa_shared_vgpr_count 0
		.amdhsa_exception_fp_ieee_invalid_op 0
		.amdhsa_exception_fp_denorm_src 0
		.amdhsa_exception_fp_ieee_div_zero 0
		.amdhsa_exception_fp_ieee_overflow 0
		.amdhsa_exception_fp_ieee_underflow 0
		.amdhsa_exception_fp_ieee_inexact 0
		.amdhsa_exception_int_div_zero 0
	.end_amdhsa_kernel
	.section	.text._ZN7rocprim17ROCPRIM_400000_NS6detail17trampoline_kernelINS0_14default_configENS1_29reduce_by_key_config_selectorIiiN6thrust23THRUST_200600_302600_NS4plusIiEEEEZZNS1_33reduce_by_key_impl_wrapped_configILNS1_25lookback_scan_determinismE0ES3_S9_NS6_18transform_iteratorI25linear_index_to_row_indexIiENS6_17counting_iteratorIiNS6_11use_defaultESG_SG_EESG_SG_EENS6_6detail15normal_iteratorINS6_10device_ptrIiEEEESN_SN_PmS8_NS6_8equal_toIiEEEE10hipError_tPvRmT2_T3_mT4_T5_T6_T7_T8_P12ihipStream_tbENKUlT_T0_E_clISt17integral_constantIbLb0EES18_EEDaS13_S14_EUlS13_E_NS1_11comp_targetILNS1_3genE0ELNS1_11target_archE4294967295ELNS1_3gpuE0ELNS1_3repE0EEENS1_30default_config_static_selectorELNS0_4arch9wavefront6targetE0EEEvT1_,"axG",@progbits,_ZN7rocprim17ROCPRIM_400000_NS6detail17trampoline_kernelINS0_14default_configENS1_29reduce_by_key_config_selectorIiiN6thrust23THRUST_200600_302600_NS4plusIiEEEEZZNS1_33reduce_by_key_impl_wrapped_configILNS1_25lookback_scan_determinismE0ES3_S9_NS6_18transform_iteratorI25linear_index_to_row_indexIiENS6_17counting_iteratorIiNS6_11use_defaultESG_SG_EESG_SG_EENS6_6detail15normal_iteratorINS6_10device_ptrIiEEEESN_SN_PmS8_NS6_8equal_toIiEEEE10hipError_tPvRmT2_T3_mT4_T5_T6_T7_T8_P12ihipStream_tbENKUlT_T0_E_clISt17integral_constantIbLb0EES18_EEDaS13_S14_EUlS13_E_NS1_11comp_targetILNS1_3genE0ELNS1_11target_archE4294967295ELNS1_3gpuE0ELNS1_3repE0EEENS1_30default_config_static_selectorELNS0_4arch9wavefront6targetE0EEEvT1_,comdat
.Lfunc_end11:
	.size	_ZN7rocprim17ROCPRIM_400000_NS6detail17trampoline_kernelINS0_14default_configENS1_29reduce_by_key_config_selectorIiiN6thrust23THRUST_200600_302600_NS4plusIiEEEEZZNS1_33reduce_by_key_impl_wrapped_configILNS1_25lookback_scan_determinismE0ES3_S9_NS6_18transform_iteratorI25linear_index_to_row_indexIiENS6_17counting_iteratorIiNS6_11use_defaultESG_SG_EESG_SG_EENS6_6detail15normal_iteratorINS6_10device_ptrIiEEEESN_SN_PmS8_NS6_8equal_toIiEEEE10hipError_tPvRmT2_T3_mT4_T5_T6_T7_T8_P12ihipStream_tbENKUlT_T0_E_clISt17integral_constantIbLb0EES18_EEDaS13_S14_EUlS13_E_NS1_11comp_targetILNS1_3genE0ELNS1_11target_archE4294967295ELNS1_3gpuE0ELNS1_3repE0EEENS1_30default_config_static_selectorELNS0_4arch9wavefront6targetE0EEEvT1_, .Lfunc_end11-_ZN7rocprim17ROCPRIM_400000_NS6detail17trampoline_kernelINS0_14default_configENS1_29reduce_by_key_config_selectorIiiN6thrust23THRUST_200600_302600_NS4plusIiEEEEZZNS1_33reduce_by_key_impl_wrapped_configILNS1_25lookback_scan_determinismE0ES3_S9_NS6_18transform_iteratorI25linear_index_to_row_indexIiENS6_17counting_iteratorIiNS6_11use_defaultESG_SG_EESG_SG_EENS6_6detail15normal_iteratorINS6_10device_ptrIiEEEESN_SN_PmS8_NS6_8equal_toIiEEEE10hipError_tPvRmT2_T3_mT4_T5_T6_T7_T8_P12ihipStream_tbENKUlT_T0_E_clISt17integral_constantIbLb0EES18_EEDaS13_S14_EUlS13_E_NS1_11comp_targetILNS1_3genE0ELNS1_11target_archE4294967295ELNS1_3gpuE0ELNS1_3repE0EEENS1_30default_config_static_selectorELNS0_4arch9wavefront6targetE0EEEvT1_
                                        ; -- End function
	.set _ZN7rocprim17ROCPRIM_400000_NS6detail17trampoline_kernelINS0_14default_configENS1_29reduce_by_key_config_selectorIiiN6thrust23THRUST_200600_302600_NS4plusIiEEEEZZNS1_33reduce_by_key_impl_wrapped_configILNS1_25lookback_scan_determinismE0ES3_S9_NS6_18transform_iteratorI25linear_index_to_row_indexIiENS6_17counting_iteratorIiNS6_11use_defaultESG_SG_EESG_SG_EENS6_6detail15normal_iteratorINS6_10device_ptrIiEEEESN_SN_PmS8_NS6_8equal_toIiEEEE10hipError_tPvRmT2_T3_mT4_T5_T6_T7_T8_P12ihipStream_tbENKUlT_T0_E_clISt17integral_constantIbLb0EES18_EEDaS13_S14_EUlS13_E_NS1_11comp_targetILNS1_3genE0ELNS1_11target_archE4294967295ELNS1_3gpuE0ELNS1_3repE0EEENS1_30default_config_static_selectorELNS0_4arch9wavefront6targetE0EEEvT1_.num_vgpr, 0
	.set _ZN7rocprim17ROCPRIM_400000_NS6detail17trampoline_kernelINS0_14default_configENS1_29reduce_by_key_config_selectorIiiN6thrust23THRUST_200600_302600_NS4plusIiEEEEZZNS1_33reduce_by_key_impl_wrapped_configILNS1_25lookback_scan_determinismE0ES3_S9_NS6_18transform_iteratorI25linear_index_to_row_indexIiENS6_17counting_iteratorIiNS6_11use_defaultESG_SG_EESG_SG_EENS6_6detail15normal_iteratorINS6_10device_ptrIiEEEESN_SN_PmS8_NS6_8equal_toIiEEEE10hipError_tPvRmT2_T3_mT4_T5_T6_T7_T8_P12ihipStream_tbENKUlT_T0_E_clISt17integral_constantIbLb0EES18_EEDaS13_S14_EUlS13_E_NS1_11comp_targetILNS1_3genE0ELNS1_11target_archE4294967295ELNS1_3gpuE0ELNS1_3repE0EEENS1_30default_config_static_selectorELNS0_4arch9wavefront6targetE0EEEvT1_.num_agpr, 0
	.set _ZN7rocprim17ROCPRIM_400000_NS6detail17trampoline_kernelINS0_14default_configENS1_29reduce_by_key_config_selectorIiiN6thrust23THRUST_200600_302600_NS4plusIiEEEEZZNS1_33reduce_by_key_impl_wrapped_configILNS1_25lookback_scan_determinismE0ES3_S9_NS6_18transform_iteratorI25linear_index_to_row_indexIiENS6_17counting_iteratorIiNS6_11use_defaultESG_SG_EESG_SG_EENS6_6detail15normal_iteratorINS6_10device_ptrIiEEEESN_SN_PmS8_NS6_8equal_toIiEEEE10hipError_tPvRmT2_T3_mT4_T5_T6_T7_T8_P12ihipStream_tbENKUlT_T0_E_clISt17integral_constantIbLb0EES18_EEDaS13_S14_EUlS13_E_NS1_11comp_targetILNS1_3genE0ELNS1_11target_archE4294967295ELNS1_3gpuE0ELNS1_3repE0EEENS1_30default_config_static_selectorELNS0_4arch9wavefront6targetE0EEEvT1_.numbered_sgpr, 0
	.set _ZN7rocprim17ROCPRIM_400000_NS6detail17trampoline_kernelINS0_14default_configENS1_29reduce_by_key_config_selectorIiiN6thrust23THRUST_200600_302600_NS4plusIiEEEEZZNS1_33reduce_by_key_impl_wrapped_configILNS1_25lookback_scan_determinismE0ES3_S9_NS6_18transform_iteratorI25linear_index_to_row_indexIiENS6_17counting_iteratorIiNS6_11use_defaultESG_SG_EESG_SG_EENS6_6detail15normal_iteratorINS6_10device_ptrIiEEEESN_SN_PmS8_NS6_8equal_toIiEEEE10hipError_tPvRmT2_T3_mT4_T5_T6_T7_T8_P12ihipStream_tbENKUlT_T0_E_clISt17integral_constantIbLb0EES18_EEDaS13_S14_EUlS13_E_NS1_11comp_targetILNS1_3genE0ELNS1_11target_archE4294967295ELNS1_3gpuE0ELNS1_3repE0EEENS1_30default_config_static_selectorELNS0_4arch9wavefront6targetE0EEEvT1_.num_named_barrier, 0
	.set _ZN7rocprim17ROCPRIM_400000_NS6detail17trampoline_kernelINS0_14default_configENS1_29reduce_by_key_config_selectorIiiN6thrust23THRUST_200600_302600_NS4plusIiEEEEZZNS1_33reduce_by_key_impl_wrapped_configILNS1_25lookback_scan_determinismE0ES3_S9_NS6_18transform_iteratorI25linear_index_to_row_indexIiENS6_17counting_iteratorIiNS6_11use_defaultESG_SG_EESG_SG_EENS6_6detail15normal_iteratorINS6_10device_ptrIiEEEESN_SN_PmS8_NS6_8equal_toIiEEEE10hipError_tPvRmT2_T3_mT4_T5_T6_T7_T8_P12ihipStream_tbENKUlT_T0_E_clISt17integral_constantIbLb0EES18_EEDaS13_S14_EUlS13_E_NS1_11comp_targetILNS1_3genE0ELNS1_11target_archE4294967295ELNS1_3gpuE0ELNS1_3repE0EEENS1_30default_config_static_selectorELNS0_4arch9wavefront6targetE0EEEvT1_.private_seg_size, 0
	.set _ZN7rocprim17ROCPRIM_400000_NS6detail17trampoline_kernelINS0_14default_configENS1_29reduce_by_key_config_selectorIiiN6thrust23THRUST_200600_302600_NS4plusIiEEEEZZNS1_33reduce_by_key_impl_wrapped_configILNS1_25lookback_scan_determinismE0ES3_S9_NS6_18transform_iteratorI25linear_index_to_row_indexIiENS6_17counting_iteratorIiNS6_11use_defaultESG_SG_EESG_SG_EENS6_6detail15normal_iteratorINS6_10device_ptrIiEEEESN_SN_PmS8_NS6_8equal_toIiEEEE10hipError_tPvRmT2_T3_mT4_T5_T6_T7_T8_P12ihipStream_tbENKUlT_T0_E_clISt17integral_constantIbLb0EES18_EEDaS13_S14_EUlS13_E_NS1_11comp_targetILNS1_3genE0ELNS1_11target_archE4294967295ELNS1_3gpuE0ELNS1_3repE0EEENS1_30default_config_static_selectorELNS0_4arch9wavefront6targetE0EEEvT1_.uses_vcc, 0
	.set _ZN7rocprim17ROCPRIM_400000_NS6detail17trampoline_kernelINS0_14default_configENS1_29reduce_by_key_config_selectorIiiN6thrust23THRUST_200600_302600_NS4plusIiEEEEZZNS1_33reduce_by_key_impl_wrapped_configILNS1_25lookback_scan_determinismE0ES3_S9_NS6_18transform_iteratorI25linear_index_to_row_indexIiENS6_17counting_iteratorIiNS6_11use_defaultESG_SG_EESG_SG_EENS6_6detail15normal_iteratorINS6_10device_ptrIiEEEESN_SN_PmS8_NS6_8equal_toIiEEEE10hipError_tPvRmT2_T3_mT4_T5_T6_T7_T8_P12ihipStream_tbENKUlT_T0_E_clISt17integral_constantIbLb0EES18_EEDaS13_S14_EUlS13_E_NS1_11comp_targetILNS1_3genE0ELNS1_11target_archE4294967295ELNS1_3gpuE0ELNS1_3repE0EEENS1_30default_config_static_selectorELNS0_4arch9wavefront6targetE0EEEvT1_.uses_flat_scratch, 0
	.set _ZN7rocprim17ROCPRIM_400000_NS6detail17trampoline_kernelINS0_14default_configENS1_29reduce_by_key_config_selectorIiiN6thrust23THRUST_200600_302600_NS4plusIiEEEEZZNS1_33reduce_by_key_impl_wrapped_configILNS1_25lookback_scan_determinismE0ES3_S9_NS6_18transform_iteratorI25linear_index_to_row_indexIiENS6_17counting_iteratorIiNS6_11use_defaultESG_SG_EESG_SG_EENS6_6detail15normal_iteratorINS6_10device_ptrIiEEEESN_SN_PmS8_NS6_8equal_toIiEEEE10hipError_tPvRmT2_T3_mT4_T5_T6_T7_T8_P12ihipStream_tbENKUlT_T0_E_clISt17integral_constantIbLb0EES18_EEDaS13_S14_EUlS13_E_NS1_11comp_targetILNS1_3genE0ELNS1_11target_archE4294967295ELNS1_3gpuE0ELNS1_3repE0EEENS1_30default_config_static_selectorELNS0_4arch9wavefront6targetE0EEEvT1_.has_dyn_sized_stack, 0
	.set _ZN7rocprim17ROCPRIM_400000_NS6detail17trampoline_kernelINS0_14default_configENS1_29reduce_by_key_config_selectorIiiN6thrust23THRUST_200600_302600_NS4plusIiEEEEZZNS1_33reduce_by_key_impl_wrapped_configILNS1_25lookback_scan_determinismE0ES3_S9_NS6_18transform_iteratorI25linear_index_to_row_indexIiENS6_17counting_iteratorIiNS6_11use_defaultESG_SG_EESG_SG_EENS6_6detail15normal_iteratorINS6_10device_ptrIiEEEESN_SN_PmS8_NS6_8equal_toIiEEEE10hipError_tPvRmT2_T3_mT4_T5_T6_T7_T8_P12ihipStream_tbENKUlT_T0_E_clISt17integral_constantIbLb0EES18_EEDaS13_S14_EUlS13_E_NS1_11comp_targetILNS1_3genE0ELNS1_11target_archE4294967295ELNS1_3gpuE0ELNS1_3repE0EEENS1_30default_config_static_selectorELNS0_4arch9wavefront6targetE0EEEvT1_.has_recursion, 0
	.set _ZN7rocprim17ROCPRIM_400000_NS6detail17trampoline_kernelINS0_14default_configENS1_29reduce_by_key_config_selectorIiiN6thrust23THRUST_200600_302600_NS4plusIiEEEEZZNS1_33reduce_by_key_impl_wrapped_configILNS1_25lookback_scan_determinismE0ES3_S9_NS6_18transform_iteratorI25linear_index_to_row_indexIiENS6_17counting_iteratorIiNS6_11use_defaultESG_SG_EESG_SG_EENS6_6detail15normal_iteratorINS6_10device_ptrIiEEEESN_SN_PmS8_NS6_8equal_toIiEEEE10hipError_tPvRmT2_T3_mT4_T5_T6_T7_T8_P12ihipStream_tbENKUlT_T0_E_clISt17integral_constantIbLb0EES18_EEDaS13_S14_EUlS13_E_NS1_11comp_targetILNS1_3genE0ELNS1_11target_archE4294967295ELNS1_3gpuE0ELNS1_3repE0EEENS1_30default_config_static_selectorELNS0_4arch9wavefront6targetE0EEEvT1_.has_indirect_call, 0
	.section	.AMDGPU.csdata,"",@progbits
; Kernel info:
; codeLenInByte = 0
; TotalNumSgprs: 0
; NumVgprs: 0
; ScratchSize: 0
; MemoryBound: 0
; FloatMode: 240
; IeeeMode: 1
; LDSByteSize: 0 bytes/workgroup (compile time only)
; SGPRBlocks: 0
; VGPRBlocks: 0
; NumSGPRsForWavesPerEU: 1
; NumVGPRsForWavesPerEU: 1
; Occupancy: 16
; WaveLimiterHint : 0
; COMPUTE_PGM_RSRC2:SCRATCH_EN: 0
; COMPUTE_PGM_RSRC2:USER_SGPR: 6
; COMPUTE_PGM_RSRC2:TRAP_HANDLER: 0
; COMPUTE_PGM_RSRC2:TGID_X_EN: 1
; COMPUTE_PGM_RSRC2:TGID_Y_EN: 0
; COMPUTE_PGM_RSRC2:TGID_Z_EN: 0
; COMPUTE_PGM_RSRC2:TIDIG_COMP_CNT: 0
	.section	.text._ZN7rocprim17ROCPRIM_400000_NS6detail17trampoline_kernelINS0_14default_configENS1_29reduce_by_key_config_selectorIiiN6thrust23THRUST_200600_302600_NS4plusIiEEEEZZNS1_33reduce_by_key_impl_wrapped_configILNS1_25lookback_scan_determinismE0ES3_S9_NS6_18transform_iteratorI25linear_index_to_row_indexIiENS6_17counting_iteratorIiNS6_11use_defaultESG_SG_EESG_SG_EENS6_6detail15normal_iteratorINS6_10device_ptrIiEEEESN_SN_PmS8_NS6_8equal_toIiEEEE10hipError_tPvRmT2_T3_mT4_T5_T6_T7_T8_P12ihipStream_tbENKUlT_T0_E_clISt17integral_constantIbLb0EES18_EEDaS13_S14_EUlS13_E_NS1_11comp_targetILNS1_3genE5ELNS1_11target_archE942ELNS1_3gpuE9ELNS1_3repE0EEENS1_30default_config_static_selectorELNS0_4arch9wavefront6targetE0EEEvT1_,"axG",@progbits,_ZN7rocprim17ROCPRIM_400000_NS6detail17trampoline_kernelINS0_14default_configENS1_29reduce_by_key_config_selectorIiiN6thrust23THRUST_200600_302600_NS4plusIiEEEEZZNS1_33reduce_by_key_impl_wrapped_configILNS1_25lookback_scan_determinismE0ES3_S9_NS6_18transform_iteratorI25linear_index_to_row_indexIiENS6_17counting_iteratorIiNS6_11use_defaultESG_SG_EESG_SG_EENS6_6detail15normal_iteratorINS6_10device_ptrIiEEEESN_SN_PmS8_NS6_8equal_toIiEEEE10hipError_tPvRmT2_T3_mT4_T5_T6_T7_T8_P12ihipStream_tbENKUlT_T0_E_clISt17integral_constantIbLb0EES18_EEDaS13_S14_EUlS13_E_NS1_11comp_targetILNS1_3genE5ELNS1_11target_archE942ELNS1_3gpuE9ELNS1_3repE0EEENS1_30default_config_static_selectorELNS0_4arch9wavefront6targetE0EEEvT1_,comdat
	.protected	_ZN7rocprim17ROCPRIM_400000_NS6detail17trampoline_kernelINS0_14default_configENS1_29reduce_by_key_config_selectorIiiN6thrust23THRUST_200600_302600_NS4plusIiEEEEZZNS1_33reduce_by_key_impl_wrapped_configILNS1_25lookback_scan_determinismE0ES3_S9_NS6_18transform_iteratorI25linear_index_to_row_indexIiENS6_17counting_iteratorIiNS6_11use_defaultESG_SG_EESG_SG_EENS6_6detail15normal_iteratorINS6_10device_ptrIiEEEESN_SN_PmS8_NS6_8equal_toIiEEEE10hipError_tPvRmT2_T3_mT4_T5_T6_T7_T8_P12ihipStream_tbENKUlT_T0_E_clISt17integral_constantIbLb0EES18_EEDaS13_S14_EUlS13_E_NS1_11comp_targetILNS1_3genE5ELNS1_11target_archE942ELNS1_3gpuE9ELNS1_3repE0EEENS1_30default_config_static_selectorELNS0_4arch9wavefront6targetE0EEEvT1_ ; -- Begin function _ZN7rocprim17ROCPRIM_400000_NS6detail17trampoline_kernelINS0_14default_configENS1_29reduce_by_key_config_selectorIiiN6thrust23THRUST_200600_302600_NS4plusIiEEEEZZNS1_33reduce_by_key_impl_wrapped_configILNS1_25lookback_scan_determinismE0ES3_S9_NS6_18transform_iteratorI25linear_index_to_row_indexIiENS6_17counting_iteratorIiNS6_11use_defaultESG_SG_EESG_SG_EENS6_6detail15normal_iteratorINS6_10device_ptrIiEEEESN_SN_PmS8_NS6_8equal_toIiEEEE10hipError_tPvRmT2_T3_mT4_T5_T6_T7_T8_P12ihipStream_tbENKUlT_T0_E_clISt17integral_constantIbLb0EES18_EEDaS13_S14_EUlS13_E_NS1_11comp_targetILNS1_3genE5ELNS1_11target_archE942ELNS1_3gpuE9ELNS1_3repE0EEENS1_30default_config_static_selectorELNS0_4arch9wavefront6targetE0EEEvT1_
	.globl	_ZN7rocprim17ROCPRIM_400000_NS6detail17trampoline_kernelINS0_14default_configENS1_29reduce_by_key_config_selectorIiiN6thrust23THRUST_200600_302600_NS4plusIiEEEEZZNS1_33reduce_by_key_impl_wrapped_configILNS1_25lookback_scan_determinismE0ES3_S9_NS6_18transform_iteratorI25linear_index_to_row_indexIiENS6_17counting_iteratorIiNS6_11use_defaultESG_SG_EESG_SG_EENS6_6detail15normal_iteratorINS6_10device_ptrIiEEEESN_SN_PmS8_NS6_8equal_toIiEEEE10hipError_tPvRmT2_T3_mT4_T5_T6_T7_T8_P12ihipStream_tbENKUlT_T0_E_clISt17integral_constantIbLb0EES18_EEDaS13_S14_EUlS13_E_NS1_11comp_targetILNS1_3genE5ELNS1_11target_archE942ELNS1_3gpuE9ELNS1_3repE0EEENS1_30default_config_static_selectorELNS0_4arch9wavefront6targetE0EEEvT1_
	.p2align	8
	.type	_ZN7rocprim17ROCPRIM_400000_NS6detail17trampoline_kernelINS0_14default_configENS1_29reduce_by_key_config_selectorIiiN6thrust23THRUST_200600_302600_NS4plusIiEEEEZZNS1_33reduce_by_key_impl_wrapped_configILNS1_25lookback_scan_determinismE0ES3_S9_NS6_18transform_iteratorI25linear_index_to_row_indexIiENS6_17counting_iteratorIiNS6_11use_defaultESG_SG_EESG_SG_EENS6_6detail15normal_iteratorINS6_10device_ptrIiEEEESN_SN_PmS8_NS6_8equal_toIiEEEE10hipError_tPvRmT2_T3_mT4_T5_T6_T7_T8_P12ihipStream_tbENKUlT_T0_E_clISt17integral_constantIbLb0EES18_EEDaS13_S14_EUlS13_E_NS1_11comp_targetILNS1_3genE5ELNS1_11target_archE942ELNS1_3gpuE9ELNS1_3repE0EEENS1_30default_config_static_selectorELNS0_4arch9wavefront6targetE0EEEvT1_,@function
_ZN7rocprim17ROCPRIM_400000_NS6detail17trampoline_kernelINS0_14default_configENS1_29reduce_by_key_config_selectorIiiN6thrust23THRUST_200600_302600_NS4plusIiEEEEZZNS1_33reduce_by_key_impl_wrapped_configILNS1_25lookback_scan_determinismE0ES3_S9_NS6_18transform_iteratorI25linear_index_to_row_indexIiENS6_17counting_iteratorIiNS6_11use_defaultESG_SG_EESG_SG_EENS6_6detail15normal_iteratorINS6_10device_ptrIiEEEESN_SN_PmS8_NS6_8equal_toIiEEEE10hipError_tPvRmT2_T3_mT4_T5_T6_T7_T8_P12ihipStream_tbENKUlT_T0_E_clISt17integral_constantIbLb0EES18_EEDaS13_S14_EUlS13_E_NS1_11comp_targetILNS1_3genE5ELNS1_11target_archE942ELNS1_3gpuE9ELNS1_3repE0EEENS1_30default_config_static_selectorELNS0_4arch9wavefront6targetE0EEEvT1_: ; @_ZN7rocprim17ROCPRIM_400000_NS6detail17trampoline_kernelINS0_14default_configENS1_29reduce_by_key_config_selectorIiiN6thrust23THRUST_200600_302600_NS4plusIiEEEEZZNS1_33reduce_by_key_impl_wrapped_configILNS1_25lookback_scan_determinismE0ES3_S9_NS6_18transform_iteratorI25linear_index_to_row_indexIiENS6_17counting_iteratorIiNS6_11use_defaultESG_SG_EESG_SG_EENS6_6detail15normal_iteratorINS6_10device_ptrIiEEEESN_SN_PmS8_NS6_8equal_toIiEEEE10hipError_tPvRmT2_T3_mT4_T5_T6_T7_T8_P12ihipStream_tbENKUlT_T0_E_clISt17integral_constantIbLb0EES18_EEDaS13_S14_EUlS13_E_NS1_11comp_targetILNS1_3genE5ELNS1_11target_archE942ELNS1_3gpuE9ELNS1_3repE0EEENS1_30default_config_static_selectorELNS0_4arch9wavefront6targetE0EEEvT1_
; %bb.0:
	.section	.rodata,"a",@progbits
	.p2align	6, 0x0
	.amdhsa_kernel _ZN7rocprim17ROCPRIM_400000_NS6detail17trampoline_kernelINS0_14default_configENS1_29reduce_by_key_config_selectorIiiN6thrust23THRUST_200600_302600_NS4plusIiEEEEZZNS1_33reduce_by_key_impl_wrapped_configILNS1_25lookback_scan_determinismE0ES3_S9_NS6_18transform_iteratorI25linear_index_to_row_indexIiENS6_17counting_iteratorIiNS6_11use_defaultESG_SG_EESG_SG_EENS6_6detail15normal_iteratorINS6_10device_ptrIiEEEESN_SN_PmS8_NS6_8equal_toIiEEEE10hipError_tPvRmT2_T3_mT4_T5_T6_T7_T8_P12ihipStream_tbENKUlT_T0_E_clISt17integral_constantIbLb0EES18_EEDaS13_S14_EUlS13_E_NS1_11comp_targetILNS1_3genE5ELNS1_11target_archE942ELNS1_3gpuE9ELNS1_3repE0EEENS1_30default_config_static_selectorELNS0_4arch9wavefront6targetE0EEEvT1_
		.amdhsa_group_segment_fixed_size 0
		.amdhsa_private_segment_fixed_size 0
		.amdhsa_kernarg_size 120
		.amdhsa_user_sgpr_count 6
		.amdhsa_user_sgpr_private_segment_buffer 1
		.amdhsa_user_sgpr_dispatch_ptr 0
		.amdhsa_user_sgpr_queue_ptr 0
		.amdhsa_user_sgpr_kernarg_segment_ptr 1
		.amdhsa_user_sgpr_dispatch_id 0
		.amdhsa_user_sgpr_flat_scratch_init 0
		.amdhsa_user_sgpr_private_segment_size 0
		.amdhsa_wavefront_size32 1
		.amdhsa_uses_dynamic_stack 0
		.amdhsa_system_sgpr_private_segment_wavefront_offset 0
		.amdhsa_system_sgpr_workgroup_id_x 1
		.amdhsa_system_sgpr_workgroup_id_y 0
		.amdhsa_system_sgpr_workgroup_id_z 0
		.amdhsa_system_sgpr_workgroup_info 0
		.amdhsa_system_vgpr_workitem_id 0
		.amdhsa_next_free_vgpr 1
		.amdhsa_next_free_sgpr 1
		.amdhsa_reserve_vcc 0
		.amdhsa_reserve_flat_scratch 0
		.amdhsa_float_round_mode_32 0
		.amdhsa_float_round_mode_16_64 0
		.amdhsa_float_denorm_mode_32 3
		.amdhsa_float_denorm_mode_16_64 3
		.amdhsa_dx10_clamp 1
		.amdhsa_ieee_mode 1
		.amdhsa_fp16_overflow 0
		.amdhsa_workgroup_processor_mode 1
		.amdhsa_memory_ordered 1
		.amdhsa_forward_progress 1
		.amdhsa_shared_vgpr_count 0
		.amdhsa_exception_fp_ieee_invalid_op 0
		.amdhsa_exception_fp_denorm_src 0
		.amdhsa_exception_fp_ieee_div_zero 0
		.amdhsa_exception_fp_ieee_overflow 0
		.amdhsa_exception_fp_ieee_underflow 0
		.amdhsa_exception_fp_ieee_inexact 0
		.amdhsa_exception_int_div_zero 0
	.end_amdhsa_kernel
	.section	.text._ZN7rocprim17ROCPRIM_400000_NS6detail17trampoline_kernelINS0_14default_configENS1_29reduce_by_key_config_selectorIiiN6thrust23THRUST_200600_302600_NS4plusIiEEEEZZNS1_33reduce_by_key_impl_wrapped_configILNS1_25lookback_scan_determinismE0ES3_S9_NS6_18transform_iteratorI25linear_index_to_row_indexIiENS6_17counting_iteratorIiNS6_11use_defaultESG_SG_EESG_SG_EENS6_6detail15normal_iteratorINS6_10device_ptrIiEEEESN_SN_PmS8_NS6_8equal_toIiEEEE10hipError_tPvRmT2_T3_mT4_T5_T6_T7_T8_P12ihipStream_tbENKUlT_T0_E_clISt17integral_constantIbLb0EES18_EEDaS13_S14_EUlS13_E_NS1_11comp_targetILNS1_3genE5ELNS1_11target_archE942ELNS1_3gpuE9ELNS1_3repE0EEENS1_30default_config_static_selectorELNS0_4arch9wavefront6targetE0EEEvT1_,"axG",@progbits,_ZN7rocprim17ROCPRIM_400000_NS6detail17trampoline_kernelINS0_14default_configENS1_29reduce_by_key_config_selectorIiiN6thrust23THRUST_200600_302600_NS4plusIiEEEEZZNS1_33reduce_by_key_impl_wrapped_configILNS1_25lookback_scan_determinismE0ES3_S9_NS6_18transform_iteratorI25linear_index_to_row_indexIiENS6_17counting_iteratorIiNS6_11use_defaultESG_SG_EESG_SG_EENS6_6detail15normal_iteratorINS6_10device_ptrIiEEEESN_SN_PmS8_NS6_8equal_toIiEEEE10hipError_tPvRmT2_T3_mT4_T5_T6_T7_T8_P12ihipStream_tbENKUlT_T0_E_clISt17integral_constantIbLb0EES18_EEDaS13_S14_EUlS13_E_NS1_11comp_targetILNS1_3genE5ELNS1_11target_archE942ELNS1_3gpuE9ELNS1_3repE0EEENS1_30default_config_static_selectorELNS0_4arch9wavefront6targetE0EEEvT1_,comdat
.Lfunc_end12:
	.size	_ZN7rocprim17ROCPRIM_400000_NS6detail17trampoline_kernelINS0_14default_configENS1_29reduce_by_key_config_selectorIiiN6thrust23THRUST_200600_302600_NS4plusIiEEEEZZNS1_33reduce_by_key_impl_wrapped_configILNS1_25lookback_scan_determinismE0ES3_S9_NS6_18transform_iteratorI25linear_index_to_row_indexIiENS6_17counting_iteratorIiNS6_11use_defaultESG_SG_EESG_SG_EENS6_6detail15normal_iteratorINS6_10device_ptrIiEEEESN_SN_PmS8_NS6_8equal_toIiEEEE10hipError_tPvRmT2_T3_mT4_T5_T6_T7_T8_P12ihipStream_tbENKUlT_T0_E_clISt17integral_constantIbLb0EES18_EEDaS13_S14_EUlS13_E_NS1_11comp_targetILNS1_3genE5ELNS1_11target_archE942ELNS1_3gpuE9ELNS1_3repE0EEENS1_30default_config_static_selectorELNS0_4arch9wavefront6targetE0EEEvT1_, .Lfunc_end12-_ZN7rocprim17ROCPRIM_400000_NS6detail17trampoline_kernelINS0_14default_configENS1_29reduce_by_key_config_selectorIiiN6thrust23THRUST_200600_302600_NS4plusIiEEEEZZNS1_33reduce_by_key_impl_wrapped_configILNS1_25lookback_scan_determinismE0ES3_S9_NS6_18transform_iteratorI25linear_index_to_row_indexIiENS6_17counting_iteratorIiNS6_11use_defaultESG_SG_EESG_SG_EENS6_6detail15normal_iteratorINS6_10device_ptrIiEEEESN_SN_PmS8_NS6_8equal_toIiEEEE10hipError_tPvRmT2_T3_mT4_T5_T6_T7_T8_P12ihipStream_tbENKUlT_T0_E_clISt17integral_constantIbLb0EES18_EEDaS13_S14_EUlS13_E_NS1_11comp_targetILNS1_3genE5ELNS1_11target_archE942ELNS1_3gpuE9ELNS1_3repE0EEENS1_30default_config_static_selectorELNS0_4arch9wavefront6targetE0EEEvT1_
                                        ; -- End function
	.set _ZN7rocprim17ROCPRIM_400000_NS6detail17trampoline_kernelINS0_14default_configENS1_29reduce_by_key_config_selectorIiiN6thrust23THRUST_200600_302600_NS4plusIiEEEEZZNS1_33reduce_by_key_impl_wrapped_configILNS1_25lookback_scan_determinismE0ES3_S9_NS6_18transform_iteratorI25linear_index_to_row_indexIiENS6_17counting_iteratorIiNS6_11use_defaultESG_SG_EESG_SG_EENS6_6detail15normal_iteratorINS6_10device_ptrIiEEEESN_SN_PmS8_NS6_8equal_toIiEEEE10hipError_tPvRmT2_T3_mT4_T5_T6_T7_T8_P12ihipStream_tbENKUlT_T0_E_clISt17integral_constantIbLb0EES18_EEDaS13_S14_EUlS13_E_NS1_11comp_targetILNS1_3genE5ELNS1_11target_archE942ELNS1_3gpuE9ELNS1_3repE0EEENS1_30default_config_static_selectorELNS0_4arch9wavefront6targetE0EEEvT1_.num_vgpr, 0
	.set _ZN7rocprim17ROCPRIM_400000_NS6detail17trampoline_kernelINS0_14default_configENS1_29reduce_by_key_config_selectorIiiN6thrust23THRUST_200600_302600_NS4plusIiEEEEZZNS1_33reduce_by_key_impl_wrapped_configILNS1_25lookback_scan_determinismE0ES3_S9_NS6_18transform_iteratorI25linear_index_to_row_indexIiENS6_17counting_iteratorIiNS6_11use_defaultESG_SG_EESG_SG_EENS6_6detail15normal_iteratorINS6_10device_ptrIiEEEESN_SN_PmS8_NS6_8equal_toIiEEEE10hipError_tPvRmT2_T3_mT4_T5_T6_T7_T8_P12ihipStream_tbENKUlT_T0_E_clISt17integral_constantIbLb0EES18_EEDaS13_S14_EUlS13_E_NS1_11comp_targetILNS1_3genE5ELNS1_11target_archE942ELNS1_3gpuE9ELNS1_3repE0EEENS1_30default_config_static_selectorELNS0_4arch9wavefront6targetE0EEEvT1_.num_agpr, 0
	.set _ZN7rocprim17ROCPRIM_400000_NS6detail17trampoline_kernelINS0_14default_configENS1_29reduce_by_key_config_selectorIiiN6thrust23THRUST_200600_302600_NS4plusIiEEEEZZNS1_33reduce_by_key_impl_wrapped_configILNS1_25lookback_scan_determinismE0ES3_S9_NS6_18transform_iteratorI25linear_index_to_row_indexIiENS6_17counting_iteratorIiNS6_11use_defaultESG_SG_EESG_SG_EENS6_6detail15normal_iteratorINS6_10device_ptrIiEEEESN_SN_PmS8_NS6_8equal_toIiEEEE10hipError_tPvRmT2_T3_mT4_T5_T6_T7_T8_P12ihipStream_tbENKUlT_T0_E_clISt17integral_constantIbLb0EES18_EEDaS13_S14_EUlS13_E_NS1_11comp_targetILNS1_3genE5ELNS1_11target_archE942ELNS1_3gpuE9ELNS1_3repE0EEENS1_30default_config_static_selectorELNS0_4arch9wavefront6targetE0EEEvT1_.numbered_sgpr, 0
	.set _ZN7rocprim17ROCPRIM_400000_NS6detail17trampoline_kernelINS0_14default_configENS1_29reduce_by_key_config_selectorIiiN6thrust23THRUST_200600_302600_NS4plusIiEEEEZZNS1_33reduce_by_key_impl_wrapped_configILNS1_25lookback_scan_determinismE0ES3_S9_NS6_18transform_iteratorI25linear_index_to_row_indexIiENS6_17counting_iteratorIiNS6_11use_defaultESG_SG_EESG_SG_EENS6_6detail15normal_iteratorINS6_10device_ptrIiEEEESN_SN_PmS8_NS6_8equal_toIiEEEE10hipError_tPvRmT2_T3_mT4_T5_T6_T7_T8_P12ihipStream_tbENKUlT_T0_E_clISt17integral_constantIbLb0EES18_EEDaS13_S14_EUlS13_E_NS1_11comp_targetILNS1_3genE5ELNS1_11target_archE942ELNS1_3gpuE9ELNS1_3repE0EEENS1_30default_config_static_selectorELNS0_4arch9wavefront6targetE0EEEvT1_.num_named_barrier, 0
	.set _ZN7rocprim17ROCPRIM_400000_NS6detail17trampoline_kernelINS0_14default_configENS1_29reduce_by_key_config_selectorIiiN6thrust23THRUST_200600_302600_NS4plusIiEEEEZZNS1_33reduce_by_key_impl_wrapped_configILNS1_25lookback_scan_determinismE0ES3_S9_NS6_18transform_iteratorI25linear_index_to_row_indexIiENS6_17counting_iteratorIiNS6_11use_defaultESG_SG_EESG_SG_EENS6_6detail15normal_iteratorINS6_10device_ptrIiEEEESN_SN_PmS8_NS6_8equal_toIiEEEE10hipError_tPvRmT2_T3_mT4_T5_T6_T7_T8_P12ihipStream_tbENKUlT_T0_E_clISt17integral_constantIbLb0EES18_EEDaS13_S14_EUlS13_E_NS1_11comp_targetILNS1_3genE5ELNS1_11target_archE942ELNS1_3gpuE9ELNS1_3repE0EEENS1_30default_config_static_selectorELNS0_4arch9wavefront6targetE0EEEvT1_.private_seg_size, 0
	.set _ZN7rocprim17ROCPRIM_400000_NS6detail17trampoline_kernelINS0_14default_configENS1_29reduce_by_key_config_selectorIiiN6thrust23THRUST_200600_302600_NS4plusIiEEEEZZNS1_33reduce_by_key_impl_wrapped_configILNS1_25lookback_scan_determinismE0ES3_S9_NS6_18transform_iteratorI25linear_index_to_row_indexIiENS6_17counting_iteratorIiNS6_11use_defaultESG_SG_EESG_SG_EENS6_6detail15normal_iteratorINS6_10device_ptrIiEEEESN_SN_PmS8_NS6_8equal_toIiEEEE10hipError_tPvRmT2_T3_mT4_T5_T6_T7_T8_P12ihipStream_tbENKUlT_T0_E_clISt17integral_constantIbLb0EES18_EEDaS13_S14_EUlS13_E_NS1_11comp_targetILNS1_3genE5ELNS1_11target_archE942ELNS1_3gpuE9ELNS1_3repE0EEENS1_30default_config_static_selectorELNS0_4arch9wavefront6targetE0EEEvT1_.uses_vcc, 0
	.set _ZN7rocprim17ROCPRIM_400000_NS6detail17trampoline_kernelINS0_14default_configENS1_29reduce_by_key_config_selectorIiiN6thrust23THRUST_200600_302600_NS4plusIiEEEEZZNS1_33reduce_by_key_impl_wrapped_configILNS1_25lookback_scan_determinismE0ES3_S9_NS6_18transform_iteratorI25linear_index_to_row_indexIiENS6_17counting_iteratorIiNS6_11use_defaultESG_SG_EESG_SG_EENS6_6detail15normal_iteratorINS6_10device_ptrIiEEEESN_SN_PmS8_NS6_8equal_toIiEEEE10hipError_tPvRmT2_T3_mT4_T5_T6_T7_T8_P12ihipStream_tbENKUlT_T0_E_clISt17integral_constantIbLb0EES18_EEDaS13_S14_EUlS13_E_NS1_11comp_targetILNS1_3genE5ELNS1_11target_archE942ELNS1_3gpuE9ELNS1_3repE0EEENS1_30default_config_static_selectorELNS0_4arch9wavefront6targetE0EEEvT1_.uses_flat_scratch, 0
	.set _ZN7rocprim17ROCPRIM_400000_NS6detail17trampoline_kernelINS0_14default_configENS1_29reduce_by_key_config_selectorIiiN6thrust23THRUST_200600_302600_NS4plusIiEEEEZZNS1_33reduce_by_key_impl_wrapped_configILNS1_25lookback_scan_determinismE0ES3_S9_NS6_18transform_iteratorI25linear_index_to_row_indexIiENS6_17counting_iteratorIiNS6_11use_defaultESG_SG_EESG_SG_EENS6_6detail15normal_iteratorINS6_10device_ptrIiEEEESN_SN_PmS8_NS6_8equal_toIiEEEE10hipError_tPvRmT2_T3_mT4_T5_T6_T7_T8_P12ihipStream_tbENKUlT_T0_E_clISt17integral_constantIbLb0EES18_EEDaS13_S14_EUlS13_E_NS1_11comp_targetILNS1_3genE5ELNS1_11target_archE942ELNS1_3gpuE9ELNS1_3repE0EEENS1_30default_config_static_selectorELNS0_4arch9wavefront6targetE0EEEvT1_.has_dyn_sized_stack, 0
	.set _ZN7rocprim17ROCPRIM_400000_NS6detail17trampoline_kernelINS0_14default_configENS1_29reduce_by_key_config_selectorIiiN6thrust23THRUST_200600_302600_NS4plusIiEEEEZZNS1_33reduce_by_key_impl_wrapped_configILNS1_25lookback_scan_determinismE0ES3_S9_NS6_18transform_iteratorI25linear_index_to_row_indexIiENS6_17counting_iteratorIiNS6_11use_defaultESG_SG_EESG_SG_EENS6_6detail15normal_iteratorINS6_10device_ptrIiEEEESN_SN_PmS8_NS6_8equal_toIiEEEE10hipError_tPvRmT2_T3_mT4_T5_T6_T7_T8_P12ihipStream_tbENKUlT_T0_E_clISt17integral_constantIbLb0EES18_EEDaS13_S14_EUlS13_E_NS1_11comp_targetILNS1_3genE5ELNS1_11target_archE942ELNS1_3gpuE9ELNS1_3repE0EEENS1_30default_config_static_selectorELNS0_4arch9wavefront6targetE0EEEvT1_.has_recursion, 0
	.set _ZN7rocprim17ROCPRIM_400000_NS6detail17trampoline_kernelINS0_14default_configENS1_29reduce_by_key_config_selectorIiiN6thrust23THRUST_200600_302600_NS4plusIiEEEEZZNS1_33reduce_by_key_impl_wrapped_configILNS1_25lookback_scan_determinismE0ES3_S9_NS6_18transform_iteratorI25linear_index_to_row_indexIiENS6_17counting_iteratorIiNS6_11use_defaultESG_SG_EESG_SG_EENS6_6detail15normal_iteratorINS6_10device_ptrIiEEEESN_SN_PmS8_NS6_8equal_toIiEEEE10hipError_tPvRmT2_T3_mT4_T5_T6_T7_T8_P12ihipStream_tbENKUlT_T0_E_clISt17integral_constantIbLb0EES18_EEDaS13_S14_EUlS13_E_NS1_11comp_targetILNS1_3genE5ELNS1_11target_archE942ELNS1_3gpuE9ELNS1_3repE0EEENS1_30default_config_static_selectorELNS0_4arch9wavefront6targetE0EEEvT1_.has_indirect_call, 0
	.section	.AMDGPU.csdata,"",@progbits
; Kernel info:
; codeLenInByte = 0
; TotalNumSgprs: 0
; NumVgprs: 0
; ScratchSize: 0
; MemoryBound: 0
; FloatMode: 240
; IeeeMode: 1
; LDSByteSize: 0 bytes/workgroup (compile time only)
; SGPRBlocks: 0
; VGPRBlocks: 0
; NumSGPRsForWavesPerEU: 1
; NumVGPRsForWavesPerEU: 1
; Occupancy: 16
; WaveLimiterHint : 0
; COMPUTE_PGM_RSRC2:SCRATCH_EN: 0
; COMPUTE_PGM_RSRC2:USER_SGPR: 6
; COMPUTE_PGM_RSRC2:TRAP_HANDLER: 0
; COMPUTE_PGM_RSRC2:TGID_X_EN: 1
; COMPUTE_PGM_RSRC2:TGID_Y_EN: 0
; COMPUTE_PGM_RSRC2:TGID_Z_EN: 0
; COMPUTE_PGM_RSRC2:TIDIG_COMP_CNT: 0
	.section	.text._ZN7rocprim17ROCPRIM_400000_NS6detail17trampoline_kernelINS0_14default_configENS1_29reduce_by_key_config_selectorIiiN6thrust23THRUST_200600_302600_NS4plusIiEEEEZZNS1_33reduce_by_key_impl_wrapped_configILNS1_25lookback_scan_determinismE0ES3_S9_NS6_18transform_iteratorI25linear_index_to_row_indexIiENS6_17counting_iteratorIiNS6_11use_defaultESG_SG_EESG_SG_EENS6_6detail15normal_iteratorINS6_10device_ptrIiEEEESN_SN_PmS8_NS6_8equal_toIiEEEE10hipError_tPvRmT2_T3_mT4_T5_T6_T7_T8_P12ihipStream_tbENKUlT_T0_E_clISt17integral_constantIbLb0EES18_EEDaS13_S14_EUlS13_E_NS1_11comp_targetILNS1_3genE4ELNS1_11target_archE910ELNS1_3gpuE8ELNS1_3repE0EEENS1_30default_config_static_selectorELNS0_4arch9wavefront6targetE0EEEvT1_,"axG",@progbits,_ZN7rocprim17ROCPRIM_400000_NS6detail17trampoline_kernelINS0_14default_configENS1_29reduce_by_key_config_selectorIiiN6thrust23THRUST_200600_302600_NS4plusIiEEEEZZNS1_33reduce_by_key_impl_wrapped_configILNS1_25lookback_scan_determinismE0ES3_S9_NS6_18transform_iteratorI25linear_index_to_row_indexIiENS6_17counting_iteratorIiNS6_11use_defaultESG_SG_EESG_SG_EENS6_6detail15normal_iteratorINS6_10device_ptrIiEEEESN_SN_PmS8_NS6_8equal_toIiEEEE10hipError_tPvRmT2_T3_mT4_T5_T6_T7_T8_P12ihipStream_tbENKUlT_T0_E_clISt17integral_constantIbLb0EES18_EEDaS13_S14_EUlS13_E_NS1_11comp_targetILNS1_3genE4ELNS1_11target_archE910ELNS1_3gpuE8ELNS1_3repE0EEENS1_30default_config_static_selectorELNS0_4arch9wavefront6targetE0EEEvT1_,comdat
	.protected	_ZN7rocprim17ROCPRIM_400000_NS6detail17trampoline_kernelINS0_14default_configENS1_29reduce_by_key_config_selectorIiiN6thrust23THRUST_200600_302600_NS4plusIiEEEEZZNS1_33reduce_by_key_impl_wrapped_configILNS1_25lookback_scan_determinismE0ES3_S9_NS6_18transform_iteratorI25linear_index_to_row_indexIiENS6_17counting_iteratorIiNS6_11use_defaultESG_SG_EESG_SG_EENS6_6detail15normal_iteratorINS6_10device_ptrIiEEEESN_SN_PmS8_NS6_8equal_toIiEEEE10hipError_tPvRmT2_T3_mT4_T5_T6_T7_T8_P12ihipStream_tbENKUlT_T0_E_clISt17integral_constantIbLb0EES18_EEDaS13_S14_EUlS13_E_NS1_11comp_targetILNS1_3genE4ELNS1_11target_archE910ELNS1_3gpuE8ELNS1_3repE0EEENS1_30default_config_static_selectorELNS0_4arch9wavefront6targetE0EEEvT1_ ; -- Begin function _ZN7rocprim17ROCPRIM_400000_NS6detail17trampoline_kernelINS0_14default_configENS1_29reduce_by_key_config_selectorIiiN6thrust23THRUST_200600_302600_NS4plusIiEEEEZZNS1_33reduce_by_key_impl_wrapped_configILNS1_25lookback_scan_determinismE0ES3_S9_NS6_18transform_iteratorI25linear_index_to_row_indexIiENS6_17counting_iteratorIiNS6_11use_defaultESG_SG_EESG_SG_EENS6_6detail15normal_iteratorINS6_10device_ptrIiEEEESN_SN_PmS8_NS6_8equal_toIiEEEE10hipError_tPvRmT2_T3_mT4_T5_T6_T7_T8_P12ihipStream_tbENKUlT_T0_E_clISt17integral_constantIbLb0EES18_EEDaS13_S14_EUlS13_E_NS1_11comp_targetILNS1_3genE4ELNS1_11target_archE910ELNS1_3gpuE8ELNS1_3repE0EEENS1_30default_config_static_selectorELNS0_4arch9wavefront6targetE0EEEvT1_
	.globl	_ZN7rocprim17ROCPRIM_400000_NS6detail17trampoline_kernelINS0_14default_configENS1_29reduce_by_key_config_selectorIiiN6thrust23THRUST_200600_302600_NS4plusIiEEEEZZNS1_33reduce_by_key_impl_wrapped_configILNS1_25lookback_scan_determinismE0ES3_S9_NS6_18transform_iteratorI25linear_index_to_row_indexIiENS6_17counting_iteratorIiNS6_11use_defaultESG_SG_EESG_SG_EENS6_6detail15normal_iteratorINS6_10device_ptrIiEEEESN_SN_PmS8_NS6_8equal_toIiEEEE10hipError_tPvRmT2_T3_mT4_T5_T6_T7_T8_P12ihipStream_tbENKUlT_T0_E_clISt17integral_constantIbLb0EES18_EEDaS13_S14_EUlS13_E_NS1_11comp_targetILNS1_3genE4ELNS1_11target_archE910ELNS1_3gpuE8ELNS1_3repE0EEENS1_30default_config_static_selectorELNS0_4arch9wavefront6targetE0EEEvT1_
	.p2align	8
	.type	_ZN7rocprim17ROCPRIM_400000_NS6detail17trampoline_kernelINS0_14default_configENS1_29reduce_by_key_config_selectorIiiN6thrust23THRUST_200600_302600_NS4plusIiEEEEZZNS1_33reduce_by_key_impl_wrapped_configILNS1_25lookback_scan_determinismE0ES3_S9_NS6_18transform_iteratorI25linear_index_to_row_indexIiENS6_17counting_iteratorIiNS6_11use_defaultESG_SG_EESG_SG_EENS6_6detail15normal_iteratorINS6_10device_ptrIiEEEESN_SN_PmS8_NS6_8equal_toIiEEEE10hipError_tPvRmT2_T3_mT4_T5_T6_T7_T8_P12ihipStream_tbENKUlT_T0_E_clISt17integral_constantIbLb0EES18_EEDaS13_S14_EUlS13_E_NS1_11comp_targetILNS1_3genE4ELNS1_11target_archE910ELNS1_3gpuE8ELNS1_3repE0EEENS1_30default_config_static_selectorELNS0_4arch9wavefront6targetE0EEEvT1_,@function
_ZN7rocprim17ROCPRIM_400000_NS6detail17trampoline_kernelINS0_14default_configENS1_29reduce_by_key_config_selectorIiiN6thrust23THRUST_200600_302600_NS4plusIiEEEEZZNS1_33reduce_by_key_impl_wrapped_configILNS1_25lookback_scan_determinismE0ES3_S9_NS6_18transform_iteratorI25linear_index_to_row_indexIiENS6_17counting_iteratorIiNS6_11use_defaultESG_SG_EESG_SG_EENS6_6detail15normal_iteratorINS6_10device_ptrIiEEEESN_SN_PmS8_NS6_8equal_toIiEEEE10hipError_tPvRmT2_T3_mT4_T5_T6_T7_T8_P12ihipStream_tbENKUlT_T0_E_clISt17integral_constantIbLb0EES18_EEDaS13_S14_EUlS13_E_NS1_11comp_targetILNS1_3genE4ELNS1_11target_archE910ELNS1_3gpuE8ELNS1_3repE0EEENS1_30default_config_static_selectorELNS0_4arch9wavefront6targetE0EEEvT1_: ; @_ZN7rocprim17ROCPRIM_400000_NS6detail17trampoline_kernelINS0_14default_configENS1_29reduce_by_key_config_selectorIiiN6thrust23THRUST_200600_302600_NS4plusIiEEEEZZNS1_33reduce_by_key_impl_wrapped_configILNS1_25lookback_scan_determinismE0ES3_S9_NS6_18transform_iteratorI25linear_index_to_row_indexIiENS6_17counting_iteratorIiNS6_11use_defaultESG_SG_EESG_SG_EENS6_6detail15normal_iteratorINS6_10device_ptrIiEEEESN_SN_PmS8_NS6_8equal_toIiEEEE10hipError_tPvRmT2_T3_mT4_T5_T6_T7_T8_P12ihipStream_tbENKUlT_T0_E_clISt17integral_constantIbLb0EES18_EEDaS13_S14_EUlS13_E_NS1_11comp_targetILNS1_3genE4ELNS1_11target_archE910ELNS1_3gpuE8ELNS1_3repE0EEENS1_30default_config_static_selectorELNS0_4arch9wavefront6targetE0EEEvT1_
; %bb.0:
	.section	.rodata,"a",@progbits
	.p2align	6, 0x0
	.amdhsa_kernel _ZN7rocprim17ROCPRIM_400000_NS6detail17trampoline_kernelINS0_14default_configENS1_29reduce_by_key_config_selectorIiiN6thrust23THRUST_200600_302600_NS4plusIiEEEEZZNS1_33reduce_by_key_impl_wrapped_configILNS1_25lookback_scan_determinismE0ES3_S9_NS6_18transform_iteratorI25linear_index_to_row_indexIiENS6_17counting_iteratorIiNS6_11use_defaultESG_SG_EESG_SG_EENS6_6detail15normal_iteratorINS6_10device_ptrIiEEEESN_SN_PmS8_NS6_8equal_toIiEEEE10hipError_tPvRmT2_T3_mT4_T5_T6_T7_T8_P12ihipStream_tbENKUlT_T0_E_clISt17integral_constantIbLb0EES18_EEDaS13_S14_EUlS13_E_NS1_11comp_targetILNS1_3genE4ELNS1_11target_archE910ELNS1_3gpuE8ELNS1_3repE0EEENS1_30default_config_static_selectorELNS0_4arch9wavefront6targetE0EEEvT1_
		.amdhsa_group_segment_fixed_size 0
		.amdhsa_private_segment_fixed_size 0
		.amdhsa_kernarg_size 120
		.amdhsa_user_sgpr_count 6
		.amdhsa_user_sgpr_private_segment_buffer 1
		.amdhsa_user_sgpr_dispatch_ptr 0
		.amdhsa_user_sgpr_queue_ptr 0
		.amdhsa_user_sgpr_kernarg_segment_ptr 1
		.amdhsa_user_sgpr_dispatch_id 0
		.amdhsa_user_sgpr_flat_scratch_init 0
		.amdhsa_user_sgpr_private_segment_size 0
		.amdhsa_wavefront_size32 1
		.amdhsa_uses_dynamic_stack 0
		.amdhsa_system_sgpr_private_segment_wavefront_offset 0
		.amdhsa_system_sgpr_workgroup_id_x 1
		.amdhsa_system_sgpr_workgroup_id_y 0
		.amdhsa_system_sgpr_workgroup_id_z 0
		.amdhsa_system_sgpr_workgroup_info 0
		.amdhsa_system_vgpr_workitem_id 0
		.amdhsa_next_free_vgpr 1
		.amdhsa_next_free_sgpr 1
		.amdhsa_reserve_vcc 0
		.amdhsa_reserve_flat_scratch 0
		.amdhsa_float_round_mode_32 0
		.amdhsa_float_round_mode_16_64 0
		.amdhsa_float_denorm_mode_32 3
		.amdhsa_float_denorm_mode_16_64 3
		.amdhsa_dx10_clamp 1
		.amdhsa_ieee_mode 1
		.amdhsa_fp16_overflow 0
		.amdhsa_workgroup_processor_mode 1
		.amdhsa_memory_ordered 1
		.amdhsa_forward_progress 1
		.amdhsa_shared_vgpr_count 0
		.amdhsa_exception_fp_ieee_invalid_op 0
		.amdhsa_exception_fp_denorm_src 0
		.amdhsa_exception_fp_ieee_div_zero 0
		.amdhsa_exception_fp_ieee_overflow 0
		.amdhsa_exception_fp_ieee_underflow 0
		.amdhsa_exception_fp_ieee_inexact 0
		.amdhsa_exception_int_div_zero 0
	.end_amdhsa_kernel
	.section	.text._ZN7rocprim17ROCPRIM_400000_NS6detail17trampoline_kernelINS0_14default_configENS1_29reduce_by_key_config_selectorIiiN6thrust23THRUST_200600_302600_NS4plusIiEEEEZZNS1_33reduce_by_key_impl_wrapped_configILNS1_25lookback_scan_determinismE0ES3_S9_NS6_18transform_iteratorI25linear_index_to_row_indexIiENS6_17counting_iteratorIiNS6_11use_defaultESG_SG_EESG_SG_EENS6_6detail15normal_iteratorINS6_10device_ptrIiEEEESN_SN_PmS8_NS6_8equal_toIiEEEE10hipError_tPvRmT2_T3_mT4_T5_T6_T7_T8_P12ihipStream_tbENKUlT_T0_E_clISt17integral_constantIbLb0EES18_EEDaS13_S14_EUlS13_E_NS1_11comp_targetILNS1_3genE4ELNS1_11target_archE910ELNS1_3gpuE8ELNS1_3repE0EEENS1_30default_config_static_selectorELNS0_4arch9wavefront6targetE0EEEvT1_,"axG",@progbits,_ZN7rocprim17ROCPRIM_400000_NS6detail17trampoline_kernelINS0_14default_configENS1_29reduce_by_key_config_selectorIiiN6thrust23THRUST_200600_302600_NS4plusIiEEEEZZNS1_33reduce_by_key_impl_wrapped_configILNS1_25lookback_scan_determinismE0ES3_S9_NS6_18transform_iteratorI25linear_index_to_row_indexIiENS6_17counting_iteratorIiNS6_11use_defaultESG_SG_EESG_SG_EENS6_6detail15normal_iteratorINS6_10device_ptrIiEEEESN_SN_PmS8_NS6_8equal_toIiEEEE10hipError_tPvRmT2_T3_mT4_T5_T6_T7_T8_P12ihipStream_tbENKUlT_T0_E_clISt17integral_constantIbLb0EES18_EEDaS13_S14_EUlS13_E_NS1_11comp_targetILNS1_3genE4ELNS1_11target_archE910ELNS1_3gpuE8ELNS1_3repE0EEENS1_30default_config_static_selectorELNS0_4arch9wavefront6targetE0EEEvT1_,comdat
.Lfunc_end13:
	.size	_ZN7rocprim17ROCPRIM_400000_NS6detail17trampoline_kernelINS0_14default_configENS1_29reduce_by_key_config_selectorIiiN6thrust23THRUST_200600_302600_NS4plusIiEEEEZZNS1_33reduce_by_key_impl_wrapped_configILNS1_25lookback_scan_determinismE0ES3_S9_NS6_18transform_iteratorI25linear_index_to_row_indexIiENS6_17counting_iteratorIiNS6_11use_defaultESG_SG_EESG_SG_EENS6_6detail15normal_iteratorINS6_10device_ptrIiEEEESN_SN_PmS8_NS6_8equal_toIiEEEE10hipError_tPvRmT2_T3_mT4_T5_T6_T7_T8_P12ihipStream_tbENKUlT_T0_E_clISt17integral_constantIbLb0EES18_EEDaS13_S14_EUlS13_E_NS1_11comp_targetILNS1_3genE4ELNS1_11target_archE910ELNS1_3gpuE8ELNS1_3repE0EEENS1_30default_config_static_selectorELNS0_4arch9wavefront6targetE0EEEvT1_, .Lfunc_end13-_ZN7rocprim17ROCPRIM_400000_NS6detail17trampoline_kernelINS0_14default_configENS1_29reduce_by_key_config_selectorIiiN6thrust23THRUST_200600_302600_NS4plusIiEEEEZZNS1_33reduce_by_key_impl_wrapped_configILNS1_25lookback_scan_determinismE0ES3_S9_NS6_18transform_iteratorI25linear_index_to_row_indexIiENS6_17counting_iteratorIiNS6_11use_defaultESG_SG_EESG_SG_EENS6_6detail15normal_iteratorINS6_10device_ptrIiEEEESN_SN_PmS8_NS6_8equal_toIiEEEE10hipError_tPvRmT2_T3_mT4_T5_T6_T7_T8_P12ihipStream_tbENKUlT_T0_E_clISt17integral_constantIbLb0EES18_EEDaS13_S14_EUlS13_E_NS1_11comp_targetILNS1_3genE4ELNS1_11target_archE910ELNS1_3gpuE8ELNS1_3repE0EEENS1_30default_config_static_selectorELNS0_4arch9wavefront6targetE0EEEvT1_
                                        ; -- End function
	.set _ZN7rocprim17ROCPRIM_400000_NS6detail17trampoline_kernelINS0_14default_configENS1_29reduce_by_key_config_selectorIiiN6thrust23THRUST_200600_302600_NS4plusIiEEEEZZNS1_33reduce_by_key_impl_wrapped_configILNS1_25lookback_scan_determinismE0ES3_S9_NS6_18transform_iteratorI25linear_index_to_row_indexIiENS6_17counting_iteratorIiNS6_11use_defaultESG_SG_EESG_SG_EENS6_6detail15normal_iteratorINS6_10device_ptrIiEEEESN_SN_PmS8_NS6_8equal_toIiEEEE10hipError_tPvRmT2_T3_mT4_T5_T6_T7_T8_P12ihipStream_tbENKUlT_T0_E_clISt17integral_constantIbLb0EES18_EEDaS13_S14_EUlS13_E_NS1_11comp_targetILNS1_3genE4ELNS1_11target_archE910ELNS1_3gpuE8ELNS1_3repE0EEENS1_30default_config_static_selectorELNS0_4arch9wavefront6targetE0EEEvT1_.num_vgpr, 0
	.set _ZN7rocprim17ROCPRIM_400000_NS6detail17trampoline_kernelINS0_14default_configENS1_29reduce_by_key_config_selectorIiiN6thrust23THRUST_200600_302600_NS4plusIiEEEEZZNS1_33reduce_by_key_impl_wrapped_configILNS1_25lookback_scan_determinismE0ES3_S9_NS6_18transform_iteratorI25linear_index_to_row_indexIiENS6_17counting_iteratorIiNS6_11use_defaultESG_SG_EESG_SG_EENS6_6detail15normal_iteratorINS6_10device_ptrIiEEEESN_SN_PmS8_NS6_8equal_toIiEEEE10hipError_tPvRmT2_T3_mT4_T5_T6_T7_T8_P12ihipStream_tbENKUlT_T0_E_clISt17integral_constantIbLb0EES18_EEDaS13_S14_EUlS13_E_NS1_11comp_targetILNS1_3genE4ELNS1_11target_archE910ELNS1_3gpuE8ELNS1_3repE0EEENS1_30default_config_static_selectorELNS0_4arch9wavefront6targetE0EEEvT1_.num_agpr, 0
	.set _ZN7rocprim17ROCPRIM_400000_NS6detail17trampoline_kernelINS0_14default_configENS1_29reduce_by_key_config_selectorIiiN6thrust23THRUST_200600_302600_NS4plusIiEEEEZZNS1_33reduce_by_key_impl_wrapped_configILNS1_25lookback_scan_determinismE0ES3_S9_NS6_18transform_iteratorI25linear_index_to_row_indexIiENS6_17counting_iteratorIiNS6_11use_defaultESG_SG_EESG_SG_EENS6_6detail15normal_iteratorINS6_10device_ptrIiEEEESN_SN_PmS8_NS6_8equal_toIiEEEE10hipError_tPvRmT2_T3_mT4_T5_T6_T7_T8_P12ihipStream_tbENKUlT_T0_E_clISt17integral_constantIbLb0EES18_EEDaS13_S14_EUlS13_E_NS1_11comp_targetILNS1_3genE4ELNS1_11target_archE910ELNS1_3gpuE8ELNS1_3repE0EEENS1_30default_config_static_selectorELNS0_4arch9wavefront6targetE0EEEvT1_.numbered_sgpr, 0
	.set _ZN7rocprim17ROCPRIM_400000_NS6detail17trampoline_kernelINS0_14default_configENS1_29reduce_by_key_config_selectorIiiN6thrust23THRUST_200600_302600_NS4plusIiEEEEZZNS1_33reduce_by_key_impl_wrapped_configILNS1_25lookback_scan_determinismE0ES3_S9_NS6_18transform_iteratorI25linear_index_to_row_indexIiENS6_17counting_iteratorIiNS6_11use_defaultESG_SG_EESG_SG_EENS6_6detail15normal_iteratorINS6_10device_ptrIiEEEESN_SN_PmS8_NS6_8equal_toIiEEEE10hipError_tPvRmT2_T3_mT4_T5_T6_T7_T8_P12ihipStream_tbENKUlT_T0_E_clISt17integral_constantIbLb0EES18_EEDaS13_S14_EUlS13_E_NS1_11comp_targetILNS1_3genE4ELNS1_11target_archE910ELNS1_3gpuE8ELNS1_3repE0EEENS1_30default_config_static_selectorELNS0_4arch9wavefront6targetE0EEEvT1_.num_named_barrier, 0
	.set _ZN7rocprim17ROCPRIM_400000_NS6detail17trampoline_kernelINS0_14default_configENS1_29reduce_by_key_config_selectorIiiN6thrust23THRUST_200600_302600_NS4plusIiEEEEZZNS1_33reduce_by_key_impl_wrapped_configILNS1_25lookback_scan_determinismE0ES3_S9_NS6_18transform_iteratorI25linear_index_to_row_indexIiENS6_17counting_iteratorIiNS6_11use_defaultESG_SG_EESG_SG_EENS6_6detail15normal_iteratorINS6_10device_ptrIiEEEESN_SN_PmS8_NS6_8equal_toIiEEEE10hipError_tPvRmT2_T3_mT4_T5_T6_T7_T8_P12ihipStream_tbENKUlT_T0_E_clISt17integral_constantIbLb0EES18_EEDaS13_S14_EUlS13_E_NS1_11comp_targetILNS1_3genE4ELNS1_11target_archE910ELNS1_3gpuE8ELNS1_3repE0EEENS1_30default_config_static_selectorELNS0_4arch9wavefront6targetE0EEEvT1_.private_seg_size, 0
	.set _ZN7rocprim17ROCPRIM_400000_NS6detail17trampoline_kernelINS0_14default_configENS1_29reduce_by_key_config_selectorIiiN6thrust23THRUST_200600_302600_NS4plusIiEEEEZZNS1_33reduce_by_key_impl_wrapped_configILNS1_25lookback_scan_determinismE0ES3_S9_NS6_18transform_iteratorI25linear_index_to_row_indexIiENS6_17counting_iteratorIiNS6_11use_defaultESG_SG_EESG_SG_EENS6_6detail15normal_iteratorINS6_10device_ptrIiEEEESN_SN_PmS8_NS6_8equal_toIiEEEE10hipError_tPvRmT2_T3_mT4_T5_T6_T7_T8_P12ihipStream_tbENKUlT_T0_E_clISt17integral_constantIbLb0EES18_EEDaS13_S14_EUlS13_E_NS1_11comp_targetILNS1_3genE4ELNS1_11target_archE910ELNS1_3gpuE8ELNS1_3repE0EEENS1_30default_config_static_selectorELNS0_4arch9wavefront6targetE0EEEvT1_.uses_vcc, 0
	.set _ZN7rocprim17ROCPRIM_400000_NS6detail17trampoline_kernelINS0_14default_configENS1_29reduce_by_key_config_selectorIiiN6thrust23THRUST_200600_302600_NS4plusIiEEEEZZNS1_33reduce_by_key_impl_wrapped_configILNS1_25lookback_scan_determinismE0ES3_S9_NS6_18transform_iteratorI25linear_index_to_row_indexIiENS6_17counting_iteratorIiNS6_11use_defaultESG_SG_EESG_SG_EENS6_6detail15normal_iteratorINS6_10device_ptrIiEEEESN_SN_PmS8_NS6_8equal_toIiEEEE10hipError_tPvRmT2_T3_mT4_T5_T6_T7_T8_P12ihipStream_tbENKUlT_T0_E_clISt17integral_constantIbLb0EES18_EEDaS13_S14_EUlS13_E_NS1_11comp_targetILNS1_3genE4ELNS1_11target_archE910ELNS1_3gpuE8ELNS1_3repE0EEENS1_30default_config_static_selectorELNS0_4arch9wavefront6targetE0EEEvT1_.uses_flat_scratch, 0
	.set _ZN7rocprim17ROCPRIM_400000_NS6detail17trampoline_kernelINS0_14default_configENS1_29reduce_by_key_config_selectorIiiN6thrust23THRUST_200600_302600_NS4plusIiEEEEZZNS1_33reduce_by_key_impl_wrapped_configILNS1_25lookback_scan_determinismE0ES3_S9_NS6_18transform_iteratorI25linear_index_to_row_indexIiENS6_17counting_iteratorIiNS6_11use_defaultESG_SG_EESG_SG_EENS6_6detail15normal_iteratorINS6_10device_ptrIiEEEESN_SN_PmS8_NS6_8equal_toIiEEEE10hipError_tPvRmT2_T3_mT4_T5_T6_T7_T8_P12ihipStream_tbENKUlT_T0_E_clISt17integral_constantIbLb0EES18_EEDaS13_S14_EUlS13_E_NS1_11comp_targetILNS1_3genE4ELNS1_11target_archE910ELNS1_3gpuE8ELNS1_3repE0EEENS1_30default_config_static_selectorELNS0_4arch9wavefront6targetE0EEEvT1_.has_dyn_sized_stack, 0
	.set _ZN7rocprim17ROCPRIM_400000_NS6detail17trampoline_kernelINS0_14default_configENS1_29reduce_by_key_config_selectorIiiN6thrust23THRUST_200600_302600_NS4plusIiEEEEZZNS1_33reduce_by_key_impl_wrapped_configILNS1_25lookback_scan_determinismE0ES3_S9_NS6_18transform_iteratorI25linear_index_to_row_indexIiENS6_17counting_iteratorIiNS6_11use_defaultESG_SG_EESG_SG_EENS6_6detail15normal_iteratorINS6_10device_ptrIiEEEESN_SN_PmS8_NS6_8equal_toIiEEEE10hipError_tPvRmT2_T3_mT4_T5_T6_T7_T8_P12ihipStream_tbENKUlT_T0_E_clISt17integral_constantIbLb0EES18_EEDaS13_S14_EUlS13_E_NS1_11comp_targetILNS1_3genE4ELNS1_11target_archE910ELNS1_3gpuE8ELNS1_3repE0EEENS1_30default_config_static_selectorELNS0_4arch9wavefront6targetE0EEEvT1_.has_recursion, 0
	.set _ZN7rocprim17ROCPRIM_400000_NS6detail17trampoline_kernelINS0_14default_configENS1_29reduce_by_key_config_selectorIiiN6thrust23THRUST_200600_302600_NS4plusIiEEEEZZNS1_33reduce_by_key_impl_wrapped_configILNS1_25lookback_scan_determinismE0ES3_S9_NS6_18transform_iteratorI25linear_index_to_row_indexIiENS6_17counting_iteratorIiNS6_11use_defaultESG_SG_EESG_SG_EENS6_6detail15normal_iteratorINS6_10device_ptrIiEEEESN_SN_PmS8_NS6_8equal_toIiEEEE10hipError_tPvRmT2_T3_mT4_T5_T6_T7_T8_P12ihipStream_tbENKUlT_T0_E_clISt17integral_constantIbLb0EES18_EEDaS13_S14_EUlS13_E_NS1_11comp_targetILNS1_3genE4ELNS1_11target_archE910ELNS1_3gpuE8ELNS1_3repE0EEENS1_30default_config_static_selectorELNS0_4arch9wavefront6targetE0EEEvT1_.has_indirect_call, 0
	.section	.AMDGPU.csdata,"",@progbits
; Kernel info:
; codeLenInByte = 0
; TotalNumSgprs: 0
; NumVgprs: 0
; ScratchSize: 0
; MemoryBound: 0
; FloatMode: 240
; IeeeMode: 1
; LDSByteSize: 0 bytes/workgroup (compile time only)
; SGPRBlocks: 0
; VGPRBlocks: 0
; NumSGPRsForWavesPerEU: 1
; NumVGPRsForWavesPerEU: 1
; Occupancy: 16
; WaveLimiterHint : 0
; COMPUTE_PGM_RSRC2:SCRATCH_EN: 0
; COMPUTE_PGM_RSRC2:USER_SGPR: 6
; COMPUTE_PGM_RSRC2:TRAP_HANDLER: 0
; COMPUTE_PGM_RSRC2:TGID_X_EN: 1
; COMPUTE_PGM_RSRC2:TGID_Y_EN: 0
; COMPUTE_PGM_RSRC2:TGID_Z_EN: 0
; COMPUTE_PGM_RSRC2:TIDIG_COMP_CNT: 0
	.section	.text._ZN7rocprim17ROCPRIM_400000_NS6detail17trampoline_kernelINS0_14default_configENS1_29reduce_by_key_config_selectorIiiN6thrust23THRUST_200600_302600_NS4plusIiEEEEZZNS1_33reduce_by_key_impl_wrapped_configILNS1_25lookback_scan_determinismE0ES3_S9_NS6_18transform_iteratorI25linear_index_to_row_indexIiENS6_17counting_iteratorIiNS6_11use_defaultESG_SG_EESG_SG_EENS6_6detail15normal_iteratorINS6_10device_ptrIiEEEESN_SN_PmS8_NS6_8equal_toIiEEEE10hipError_tPvRmT2_T3_mT4_T5_T6_T7_T8_P12ihipStream_tbENKUlT_T0_E_clISt17integral_constantIbLb0EES18_EEDaS13_S14_EUlS13_E_NS1_11comp_targetILNS1_3genE3ELNS1_11target_archE908ELNS1_3gpuE7ELNS1_3repE0EEENS1_30default_config_static_selectorELNS0_4arch9wavefront6targetE0EEEvT1_,"axG",@progbits,_ZN7rocprim17ROCPRIM_400000_NS6detail17trampoline_kernelINS0_14default_configENS1_29reduce_by_key_config_selectorIiiN6thrust23THRUST_200600_302600_NS4plusIiEEEEZZNS1_33reduce_by_key_impl_wrapped_configILNS1_25lookback_scan_determinismE0ES3_S9_NS6_18transform_iteratorI25linear_index_to_row_indexIiENS6_17counting_iteratorIiNS6_11use_defaultESG_SG_EESG_SG_EENS6_6detail15normal_iteratorINS6_10device_ptrIiEEEESN_SN_PmS8_NS6_8equal_toIiEEEE10hipError_tPvRmT2_T3_mT4_T5_T6_T7_T8_P12ihipStream_tbENKUlT_T0_E_clISt17integral_constantIbLb0EES18_EEDaS13_S14_EUlS13_E_NS1_11comp_targetILNS1_3genE3ELNS1_11target_archE908ELNS1_3gpuE7ELNS1_3repE0EEENS1_30default_config_static_selectorELNS0_4arch9wavefront6targetE0EEEvT1_,comdat
	.protected	_ZN7rocprim17ROCPRIM_400000_NS6detail17trampoline_kernelINS0_14default_configENS1_29reduce_by_key_config_selectorIiiN6thrust23THRUST_200600_302600_NS4plusIiEEEEZZNS1_33reduce_by_key_impl_wrapped_configILNS1_25lookback_scan_determinismE0ES3_S9_NS6_18transform_iteratorI25linear_index_to_row_indexIiENS6_17counting_iteratorIiNS6_11use_defaultESG_SG_EESG_SG_EENS6_6detail15normal_iteratorINS6_10device_ptrIiEEEESN_SN_PmS8_NS6_8equal_toIiEEEE10hipError_tPvRmT2_T3_mT4_T5_T6_T7_T8_P12ihipStream_tbENKUlT_T0_E_clISt17integral_constantIbLb0EES18_EEDaS13_S14_EUlS13_E_NS1_11comp_targetILNS1_3genE3ELNS1_11target_archE908ELNS1_3gpuE7ELNS1_3repE0EEENS1_30default_config_static_selectorELNS0_4arch9wavefront6targetE0EEEvT1_ ; -- Begin function _ZN7rocprim17ROCPRIM_400000_NS6detail17trampoline_kernelINS0_14default_configENS1_29reduce_by_key_config_selectorIiiN6thrust23THRUST_200600_302600_NS4plusIiEEEEZZNS1_33reduce_by_key_impl_wrapped_configILNS1_25lookback_scan_determinismE0ES3_S9_NS6_18transform_iteratorI25linear_index_to_row_indexIiENS6_17counting_iteratorIiNS6_11use_defaultESG_SG_EESG_SG_EENS6_6detail15normal_iteratorINS6_10device_ptrIiEEEESN_SN_PmS8_NS6_8equal_toIiEEEE10hipError_tPvRmT2_T3_mT4_T5_T6_T7_T8_P12ihipStream_tbENKUlT_T0_E_clISt17integral_constantIbLb0EES18_EEDaS13_S14_EUlS13_E_NS1_11comp_targetILNS1_3genE3ELNS1_11target_archE908ELNS1_3gpuE7ELNS1_3repE0EEENS1_30default_config_static_selectorELNS0_4arch9wavefront6targetE0EEEvT1_
	.globl	_ZN7rocprim17ROCPRIM_400000_NS6detail17trampoline_kernelINS0_14default_configENS1_29reduce_by_key_config_selectorIiiN6thrust23THRUST_200600_302600_NS4plusIiEEEEZZNS1_33reduce_by_key_impl_wrapped_configILNS1_25lookback_scan_determinismE0ES3_S9_NS6_18transform_iteratorI25linear_index_to_row_indexIiENS6_17counting_iteratorIiNS6_11use_defaultESG_SG_EESG_SG_EENS6_6detail15normal_iteratorINS6_10device_ptrIiEEEESN_SN_PmS8_NS6_8equal_toIiEEEE10hipError_tPvRmT2_T3_mT4_T5_T6_T7_T8_P12ihipStream_tbENKUlT_T0_E_clISt17integral_constantIbLb0EES18_EEDaS13_S14_EUlS13_E_NS1_11comp_targetILNS1_3genE3ELNS1_11target_archE908ELNS1_3gpuE7ELNS1_3repE0EEENS1_30default_config_static_selectorELNS0_4arch9wavefront6targetE0EEEvT1_
	.p2align	8
	.type	_ZN7rocprim17ROCPRIM_400000_NS6detail17trampoline_kernelINS0_14default_configENS1_29reduce_by_key_config_selectorIiiN6thrust23THRUST_200600_302600_NS4plusIiEEEEZZNS1_33reduce_by_key_impl_wrapped_configILNS1_25lookback_scan_determinismE0ES3_S9_NS6_18transform_iteratorI25linear_index_to_row_indexIiENS6_17counting_iteratorIiNS6_11use_defaultESG_SG_EESG_SG_EENS6_6detail15normal_iteratorINS6_10device_ptrIiEEEESN_SN_PmS8_NS6_8equal_toIiEEEE10hipError_tPvRmT2_T3_mT4_T5_T6_T7_T8_P12ihipStream_tbENKUlT_T0_E_clISt17integral_constantIbLb0EES18_EEDaS13_S14_EUlS13_E_NS1_11comp_targetILNS1_3genE3ELNS1_11target_archE908ELNS1_3gpuE7ELNS1_3repE0EEENS1_30default_config_static_selectorELNS0_4arch9wavefront6targetE0EEEvT1_,@function
_ZN7rocprim17ROCPRIM_400000_NS6detail17trampoline_kernelINS0_14default_configENS1_29reduce_by_key_config_selectorIiiN6thrust23THRUST_200600_302600_NS4plusIiEEEEZZNS1_33reduce_by_key_impl_wrapped_configILNS1_25lookback_scan_determinismE0ES3_S9_NS6_18transform_iteratorI25linear_index_to_row_indexIiENS6_17counting_iteratorIiNS6_11use_defaultESG_SG_EESG_SG_EENS6_6detail15normal_iteratorINS6_10device_ptrIiEEEESN_SN_PmS8_NS6_8equal_toIiEEEE10hipError_tPvRmT2_T3_mT4_T5_T6_T7_T8_P12ihipStream_tbENKUlT_T0_E_clISt17integral_constantIbLb0EES18_EEDaS13_S14_EUlS13_E_NS1_11comp_targetILNS1_3genE3ELNS1_11target_archE908ELNS1_3gpuE7ELNS1_3repE0EEENS1_30default_config_static_selectorELNS0_4arch9wavefront6targetE0EEEvT1_: ; @_ZN7rocprim17ROCPRIM_400000_NS6detail17trampoline_kernelINS0_14default_configENS1_29reduce_by_key_config_selectorIiiN6thrust23THRUST_200600_302600_NS4plusIiEEEEZZNS1_33reduce_by_key_impl_wrapped_configILNS1_25lookback_scan_determinismE0ES3_S9_NS6_18transform_iteratorI25linear_index_to_row_indexIiENS6_17counting_iteratorIiNS6_11use_defaultESG_SG_EESG_SG_EENS6_6detail15normal_iteratorINS6_10device_ptrIiEEEESN_SN_PmS8_NS6_8equal_toIiEEEE10hipError_tPvRmT2_T3_mT4_T5_T6_T7_T8_P12ihipStream_tbENKUlT_T0_E_clISt17integral_constantIbLb0EES18_EEDaS13_S14_EUlS13_E_NS1_11comp_targetILNS1_3genE3ELNS1_11target_archE908ELNS1_3gpuE7ELNS1_3repE0EEENS1_30default_config_static_selectorELNS0_4arch9wavefront6targetE0EEEvT1_
; %bb.0:
	.section	.rodata,"a",@progbits
	.p2align	6, 0x0
	.amdhsa_kernel _ZN7rocprim17ROCPRIM_400000_NS6detail17trampoline_kernelINS0_14default_configENS1_29reduce_by_key_config_selectorIiiN6thrust23THRUST_200600_302600_NS4plusIiEEEEZZNS1_33reduce_by_key_impl_wrapped_configILNS1_25lookback_scan_determinismE0ES3_S9_NS6_18transform_iteratorI25linear_index_to_row_indexIiENS6_17counting_iteratorIiNS6_11use_defaultESG_SG_EESG_SG_EENS6_6detail15normal_iteratorINS6_10device_ptrIiEEEESN_SN_PmS8_NS6_8equal_toIiEEEE10hipError_tPvRmT2_T3_mT4_T5_T6_T7_T8_P12ihipStream_tbENKUlT_T0_E_clISt17integral_constantIbLb0EES18_EEDaS13_S14_EUlS13_E_NS1_11comp_targetILNS1_3genE3ELNS1_11target_archE908ELNS1_3gpuE7ELNS1_3repE0EEENS1_30default_config_static_selectorELNS0_4arch9wavefront6targetE0EEEvT1_
		.amdhsa_group_segment_fixed_size 0
		.amdhsa_private_segment_fixed_size 0
		.amdhsa_kernarg_size 120
		.amdhsa_user_sgpr_count 6
		.amdhsa_user_sgpr_private_segment_buffer 1
		.amdhsa_user_sgpr_dispatch_ptr 0
		.amdhsa_user_sgpr_queue_ptr 0
		.amdhsa_user_sgpr_kernarg_segment_ptr 1
		.amdhsa_user_sgpr_dispatch_id 0
		.amdhsa_user_sgpr_flat_scratch_init 0
		.amdhsa_user_sgpr_private_segment_size 0
		.amdhsa_wavefront_size32 1
		.amdhsa_uses_dynamic_stack 0
		.amdhsa_system_sgpr_private_segment_wavefront_offset 0
		.amdhsa_system_sgpr_workgroup_id_x 1
		.amdhsa_system_sgpr_workgroup_id_y 0
		.amdhsa_system_sgpr_workgroup_id_z 0
		.amdhsa_system_sgpr_workgroup_info 0
		.amdhsa_system_vgpr_workitem_id 0
		.amdhsa_next_free_vgpr 1
		.amdhsa_next_free_sgpr 1
		.amdhsa_reserve_vcc 0
		.amdhsa_reserve_flat_scratch 0
		.amdhsa_float_round_mode_32 0
		.amdhsa_float_round_mode_16_64 0
		.amdhsa_float_denorm_mode_32 3
		.amdhsa_float_denorm_mode_16_64 3
		.amdhsa_dx10_clamp 1
		.amdhsa_ieee_mode 1
		.amdhsa_fp16_overflow 0
		.amdhsa_workgroup_processor_mode 1
		.amdhsa_memory_ordered 1
		.amdhsa_forward_progress 1
		.amdhsa_shared_vgpr_count 0
		.amdhsa_exception_fp_ieee_invalid_op 0
		.amdhsa_exception_fp_denorm_src 0
		.amdhsa_exception_fp_ieee_div_zero 0
		.amdhsa_exception_fp_ieee_overflow 0
		.amdhsa_exception_fp_ieee_underflow 0
		.amdhsa_exception_fp_ieee_inexact 0
		.amdhsa_exception_int_div_zero 0
	.end_amdhsa_kernel
	.section	.text._ZN7rocprim17ROCPRIM_400000_NS6detail17trampoline_kernelINS0_14default_configENS1_29reduce_by_key_config_selectorIiiN6thrust23THRUST_200600_302600_NS4plusIiEEEEZZNS1_33reduce_by_key_impl_wrapped_configILNS1_25lookback_scan_determinismE0ES3_S9_NS6_18transform_iteratorI25linear_index_to_row_indexIiENS6_17counting_iteratorIiNS6_11use_defaultESG_SG_EESG_SG_EENS6_6detail15normal_iteratorINS6_10device_ptrIiEEEESN_SN_PmS8_NS6_8equal_toIiEEEE10hipError_tPvRmT2_T3_mT4_T5_T6_T7_T8_P12ihipStream_tbENKUlT_T0_E_clISt17integral_constantIbLb0EES18_EEDaS13_S14_EUlS13_E_NS1_11comp_targetILNS1_3genE3ELNS1_11target_archE908ELNS1_3gpuE7ELNS1_3repE0EEENS1_30default_config_static_selectorELNS0_4arch9wavefront6targetE0EEEvT1_,"axG",@progbits,_ZN7rocprim17ROCPRIM_400000_NS6detail17trampoline_kernelINS0_14default_configENS1_29reduce_by_key_config_selectorIiiN6thrust23THRUST_200600_302600_NS4plusIiEEEEZZNS1_33reduce_by_key_impl_wrapped_configILNS1_25lookback_scan_determinismE0ES3_S9_NS6_18transform_iteratorI25linear_index_to_row_indexIiENS6_17counting_iteratorIiNS6_11use_defaultESG_SG_EESG_SG_EENS6_6detail15normal_iteratorINS6_10device_ptrIiEEEESN_SN_PmS8_NS6_8equal_toIiEEEE10hipError_tPvRmT2_T3_mT4_T5_T6_T7_T8_P12ihipStream_tbENKUlT_T0_E_clISt17integral_constantIbLb0EES18_EEDaS13_S14_EUlS13_E_NS1_11comp_targetILNS1_3genE3ELNS1_11target_archE908ELNS1_3gpuE7ELNS1_3repE0EEENS1_30default_config_static_selectorELNS0_4arch9wavefront6targetE0EEEvT1_,comdat
.Lfunc_end14:
	.size	_ZN7rocprim17ROCPRIM_400000_NS6detail17trampoline_kernelINS0_14default_configENS1_29reduce_by_key_config_selectorIiiN6thrust23THRUST_200600_302600_NS4plusIiEEEEZZNS1_33reduce_by_key_impl_wrapped_configILNS1_25lookback_scan_determinismE0ES3_S9_NS6_18transform_iteratorI25linear_index_to_row_indexIiENS6_17counting_iteratorIiNS6_11use_defaultESG_SG_EESG_SG_EENS6_6detail15normal_iteratorINS6_10device_ptrIiEEEESN_SN_PmS8_NS6_8equal_toIiEEEE10hipError_tPvRmT2_T3_mT4_T5_T6_T7_T8_P12ihipStream_tbENKUlT_T0_E_clISt17integral_constantIbLb0EES18_EEDaS13_S14_EUlS13_E_NS1_11comp_targetILNS1_3genE3ELNS1_11target_archE908ELNS1_3gpuE7ELNS1_3repE0EEENS1_30default_config_static_selectorELNS0_4arch9wavefront6targetE0EEEvT1_, .Lfunc_end14-_ZN7rocprim17ROCPRIM_400000_NS6detail17trampoline_kernelINS0_14default_configENS1_29reduce_by_key_config_selectorIiiN6thrust23THRUST_200600_302600_NS4plusIiEEEEZZNS1_33reduce_by_key_impl_wrapped_configILNS1_25lookback_scan_determinismE0ES3_S9_NS6_18transform_iteratorI25linear_index_to_row_indexIiENS6_17counting_iteratorIiNS6_11use_defaultESG_SG_EESG_SG_EENS6_6detail15normal_iteratorINS6_10device_ptrIiEEEESN_SN_PmS8_NS6_8equal_toIiEEEE10hipError_tPvRmT2_T3_mT4_T5_T6_T7_T8_P12ihipStream_tbENKUlT_T0_E_clISt17integral_constantIbLb0EES18_EEDaS13_S14_EUlS13_E_NS1_11comp_targetILNS1_3genE3ELNS1_11target_archE908ELNS1_3gpuE7ELNS1_3repE0EEENS1_30default_config_static_selectorELNS0_4arch9wavefront6targetE0EEEvT1_
                                        ; -- End function
	.set _ZN7rocprim17ROCPRIM_400000_NS6detail17trampoline_kernelINS0_14default_configENS1_29reduce_by_key_config_selectorIiiN6thrust23THRUST_200600_302600_NS4plusIiEEEEZZNS1_33reduce_by_key_impl_wrapped_configILNS1_25lookback_scan_determinismE0ES3_S9_NS6_18transform_iteratorI25linear_index_to_row_indexIiENS6_17counting_iteratorIiNS6_11use_defaultESG_SG_EESG_SG_EENS6_6detail15normal_iteratorINS6_10device_ptrIiEEEESN_SN_PmS8_NS6_8equal_toIiEEEE10hipError_tPvRmT2_T3_mT4_T5_T6_T7_T8_P12ihipStream_tbENKUlT_T0_E_clISt17integral_constantIbLb0EES18_EEDaS13_S14_EUlS13_E_NS1_11comp_targetILNS1_3genE3ELNS1_11target_archE908ELNS1_3gpuE7ELNS1_3repE0EEENS1_30default_config_static_selectorELNS0_4arch9wavefront6targetE0EEEvT1_.num_vgpr, 0
	.set _ZN7rocprim17ROCPRIM_400000_NS6detail17trampoline_kernelINS0_14default_configENS1_29reduce_by_key_config_selectorIiiN6thrust23THRUST_200600_302600_NS4plusIiEEEEZZNS1_33reduce_by_key_impl_wrapped_configILNS1_25lookback_scan_determinismE0ES3_S9_NS6_18transform_iteratorI25linear_index_to_row_indexIiENS6_17counting_iteratorIiNS6_11use_defaultESG_SG_EESG_SG_EENS6_6detail15normal_iteratorINS6_10device_ptrIiEEEESN_SN_PmS8_NS6_8equal_toIiEEEE10hipError_tPvRmT2_T3_mT4_T5_T6_T7_T8_P12ihipStream_tbENKUlT_T0_E_clISt17integral_constantIbLb0EES18_EEDaS13_S14_EUlS13_E_NS1_11comp_targetILNS1_3genE3ELNS1_11target_archE908ELNS1_3gpuE7ELNS1_3repE0EEENS1_30default_config_static_selectorELNS0_4arch9wavefront6targetE0EEEvT1_.num_agpr, 0
	.set _ZN7rocprim17ROCPRIM_400000_NS6detail17trampoline_kernelINS0_14default_configENS1_29reduce_by_key_config_selectorIiiN6thrust23THRUST_200600_302600_NS4plusIiEEEEZZNS1_33reduce_by_key_impl_wrapped_configILNS1_25lookback_scan_determinismE0ES3_S9_NS6_18transform_iteratorI25linear_index_to_row_indexIiENS6_17counting_iteratorIiNS6_11use_defaultESG_SG_EESG_SG_EENS6_6detail15normal_iteratorINS6_10device_ptrIiEEEESN_SN_PmS8_NS6_8equal_toIiEEEE10hipError_tPvRmT2_T3_mT4_T5_T6_T7_T8_P12ihipStream_tbENKUlT_T0_E_clISt17integral_constantIbLb0EES18_EEDaS13_S14_EUlS13_E_NS1_11comp_targetILNS1_3genE3ELNS1_11target_archE908ELNS1_3gpuE7ELNS1_3repE0EEENS1_30default_config_static_selectorELNS0_4arch9wavefront6targetE0EEEvT1_.numbered_sgpr, 0
	.set _ZN7rocprim17ROCPRIM_400000_NS6detail17trampoline_kernelINS0_14default_configENS1_29reduce_by_key_config_selectorIiiN6thrust23THRUST_200600_302600_NS4plusIiEEEEZZNS1_33reduce_by_key_impl_wrapped_configILNS1_25lookback_scan_determinismE0ES3_S9_NS6_18transform_iteratorI25linear_index_to_row_indexIiENS6_17counting_iteratorIiNS6_11use_defaultESG_SG_EESG_SG_EENS6_6detail15normal_iteratorINS6_10device_ptrIiEEEESN_SN_PmS8_NS6_8equal_toIiEEEE10hipError_tPvRmT2_T3_mT4_T5_T6_T7_T8_P12ihipStream_tbENKUlT_T0_E_clISt17integral_constantIbLb0EES18_EEDaS13_S14_EUlS13_E_NS1_11comp_targetILNS1_3genE3ELNS1_11target_archE908ELNS1_3gpuE7ELNS1_3repE0EEENS1_30default_config_static_selectorELNS0_4arch9wavefront6targetE0EEEvT1_.num_named_barrier, 0
	.set _ZN7rocprim17ROCPRIM_400000_NS6detail17trampoline_kernelINS0_14default_configENS1_29reduce_by_key_config_selectorIiiN6thrust23THRUST_200600_302600_NS4plusIiEEEEZZNS1_33reduce_by_key_impl_wrapped_configILNS1_25lookback_scan_determinismE0ES3_S9_NS6_18transform_iteratorI25linear_index_to_row_indexIiENS6_17counting_iteratorIiNS6_11use_defaultESG_SG_EESG_SG_EENS6_6detail15normal_iteratorINS6_10device_ptrIiEEEESN_SN_PmS8_NS6_8equal_toIiEEEE10hipError_tPvRmT2_T3_mT4_T5_T6_T7_T8_P12ihipStream_tbENKUlT_T0_E_clISt17integral_constantIbLb0EES18_EEDaS13_S14_EUlS13_E_NS1_11comp_targetILNS1_3genE3ELNS1_11target_archE908ELNS1_3gpuE7ELNS1_3repE0EEENS1_30default_config_static_selectorELNS0_4arch9wavefront6targetE0EEEvT1_.private_seg_size, 0
	.set _ZN7rocprim17ROCPRIM_400000_NS6detail17trampoline_kernelINS0_14default_configENS1_29reduce_by_key_config_selectorIiiN6thrust23THRUST_200600_302600_NS4plusIiEEEEZZNS1_33reduce_by_key_impl_wrapped_configILNS1_25lookback_scan_determinismE0ES3_S9_NS6_18transform_iteratorI25linear_index_to_row_indexIiENS6_17counting_iteratorIiNS6_11use_defaultESG_SG_EESG_SG_EENS6_6detail15normal_iteratorINS6_10device_ptrIiEEEESN_SN_PmS8_NS6_8equal_toIiEEEE10hipError_tPvRmT2_T3_mT4_T5_T6_T7_T8_P12ihipStream_tbENKUlT_T0_E_clISt17integral_constantIbLb0EES18_EEDaS13_S14_EUlS13_E_NS1_11comp_targetILNS1_3genE3ELNS1_11target_archE908ELNS1_3gpuE7ELNS1_3repE0EEENS1_30default_config_static_selectorELNS0_4arch9wavefront6targetE0EEEvT1_.uses_vcc, 0
	.set _ZN7rocprim17ROCPRIM_400000_NS6detail17trampoline_kernelINS0_14default_configENS1_29reduce_by_key_config_selectorIiiN6thrust23THRUST_200600_302600_NS4plusIiEEEEZZNS1_33reduce_by_key_impl_wrapped_configILNS1_25lookback_scan_determinismE0ES3_S9_NS6_18transform_iteratorI25linear_index_to_row_indexIiENS6_17counting_iteratorIiNS6_11use_defaultESG_SG_EESG_SG_EENS6_6detail15normal_iteratorINS6_10device_ptrIiEEEESN_SN_PmS8_NS6_8equal_toIiEEEE10hipError_tPvRmT2_T3_mT4_T5_T6_T7_T8_P12ihipStream_tbENKUlT_T0_E_clISt17integral_constantIbLb0EES18_EEDaS13_S14_EUlS13_E_NS1_11comp_targetILNS1_3genE3ELNS1_11target_archE908ELNS1_3gpuE7ELNS1_3repE0EEENS1_30default_config_static_selectorELNS0_4arch9wavefront6targetE0EEEvT1_.uses_flat_scratch, 0
	.set _ZN7rocprim17ROCPRIM_400000_NS6detail17trampoline_kernelINS0_14default_configENS1_29reduce_by_key_config_selectorIiiN6thrust23THRUST_200600_302600_NS4plusIiEEEEZZNS1_33reduce_by_key_impl_wrapped_configILNS1_25lookback_scan_determinismE0ES3_S9_NS6_18transform_iteratorI25linear_index_to_row_indexIiENS6_17counting_iteratorIiNS6_11use_defaultESG_SG_EESG_SG_EENS6_6detail15normal_iteratorINS6_10device_ptrIiEEEESN_SN_PmS8_NS6_8equal_toIiEEEE10hipError_tPvRmT2_T3_mT4_T5_T6_T7_T8_P12ihipStream_tbENKUlT_T0_E_clISt17integral_constantIbLb0EES18_EEDaS13_S14_EUlS13_E_NS1_11comp_targetILNS1_3genE3ELNS1_11target_archE908ELNS1_3gpuE7ELNS1_3repE0EEENS1_30default_config_static_selectorELNS0_4arch9wavefront6targetE0EEEvT1_.has_dyn_sized_stack, 0
	.set _ZN7rocprim17ROCPRIM_400000_NS6detail17trampoline_kernelINS0_14default_configENS1_29reduce_by_key_config_selectorIiiN6thrust23THRUST_200600_302600_NS4plusIiEEEEZZNS1_33reduce_by_key_impl_wrapped_configILNS1_25lookback_scan_determinismE0ES3_S9_NS6_18transform_iteratorI25linear_index_to_row_indexIiENS6_17counting_iteratorIiNS6_11use_defaultESG_SG_EESG_SG_EENS6_6detail15normal_iteratorINS6_10device_ptrIiEEEESN_SN_PmS8_NS6_8equal_toIiEEEE10hipError_tPvRmT2_T3_mT4_T5_T6_T7_T8_P12ihipStream_tbENKUlT_T0_E_clISt17integral_constantIbLb0EES18_EEDaS13_S14_EUlS13_E_NS1_11comp_targetILNS1_3genE3ELNS1_11target_archE908ELNS1_3gpuE7ELNS1_3repE0EEENS1_30default_config_static_selectorELNS0_4arch9wavefront6targetE0EEEvT1_.has_recursion, 0
	.set _ZN7rocprim17ROCPRIM_400000_NS6detail17trampoline_kernelINS0_14default_configENS1_29reduce_by_key_config_selectorIiiN6thrust23THRUST_200600_302600_NS4plusIiEEEEZZNS1_33reduce_by_key_impl_wrapped_configILNS1_25lookback_scan_determinismE0ES3_S9_NS6_18transform_iteratorI25linear_index_to_row_indexIiENS6_17counting_iteratorIiNS6_11use_defaultESG_SG_EESG_SG_EENS6_6detail15normal_iteratorINS6_10device_ptrIiEEEESN_SN_PmS8_NS6_8equal_toIiEEEE10hipError_tPvRmT2_T3_mT4_T5_T6_T7_T8_P12ihipStream_tbENKUlT_T0_E_clISt17integral_constantIbLb0EES18_EEDaS13_S14_EUlS13_E_NS1_11comp_targetILNS1_3genE3ELNS1_11target_archE908ELNS1_3gpuE7ELNS1_3repE0EEENS1_30default_config_static_selectorELNS0_4arch9wavefront6targetE0EEEvT1_.has_indirect_call, 0
	.section	.AMDGPU.csdata,"",@progbits
; Kernel info:
; codeLenInByte = 0
; TotalNumSgprs: 0
; NumVgprs: 0
; ScratchSize: 0
; MemoryBound: 0
; FloatMode: 240
; IeeeMode: 1
; LDSByteSize: 0 bytes/workgroup (compile time only)
; SGPRBlocks: 0
; VGPRBlocks: 0
; NumSGPRsForWavesPerEU: 1
; NumVGPRsForWavesPerEU: 1
; Occupancy: 16
; WaveLimiterHint : 0
; COMPUTE_PGM_RSRC2:SCRATCH_EN: 0
; COMPUTE_PGM_RSRC2:USER_SGPR: 6
; COMPUTE_PGM_RSRC2:TRAP_HANDLER: 0
; COMPUTE_PGM_RSRC2:TGID_X_EN: 1
; COMPUTE_PGM_RSRC2:TGID_Y_EN: 0
; COMPUTE_PGM_RSRC2:TGID_Z_EN: 0
; COMPUTE_PGM_RSRC2:TIDIG_COMP_CNT: 0
	.section	.text._ZN7rocprim17ROCPRIM_400000_NS6detail17trampoline_kernelINS0_14default_configENS1_29reduce_by_key_config_selectorIiiN6thrust23THRUST_200600_302600_NS4plusIiEEEEZZNS1_33reduce_by_key_impl_wrapped_configILNS1_25lookback_scan_determinismE0ES3_S9_NS6_18transform_iteratorI25linear_index_to_row_indexIiENS6_17counting_iteratorIiNS6_11use_defaultESG_SG_EESG_SG_EENS6_6detail15normal_iteratorINS6_10device_ptrIiEEEESN_SN_PmS8_NS6_8equal_toIiEEEE10hipError_tPvRmT2_T3_mT4_T5_T6_T7_T8_P12ihipStream_tbENKUlT_T0_E_clISt17integral_constantIbLb0EES18_EEDaS13_S14_EUlS13_E_NS1_11comp_targetILNS1_3genE2ELNS1_11target_archE906ELNS1_3gpuE6ELNS1_3repE0EEENS1_30default_config_static_selectorELNS0_4arch9wavefront6targetE0EEEvT1_,"axG",@progbits,_ZN7rocprim17ROCPRIM_400000_NS6detail17trampoline_kernelINS0_14default_configENS1_29reduce_by_key_config_selectorIiiN6thrust23THRUST_200600_302600_NS4plusIiEEEEZZNS1_33reduce_by_key_impl_wrapped_configILNS1_25lookback_scan_determinismE0ES3_S9_NS6_18transform_iteratorI25linear_index_to_row_indexIiENS6_17counting_iteratorIiNS6_11use_defaultESG_SG_EESG_SG_EENS6_6detail15normal_iteratorINS6_10device_ptrIiEEEESN_SN_PmS8_NS6_8equal_toIiEEEE10hipError_tPvRmT2_T3_mT4_T5_T6_T7_T8_P12ihipStream_tbENKUlT_T0_E_clISt17integral_constantIbLb0EES18_EEDaS13_S14_EUlS13_E_NS1_11comp_targetILNS1_3genE2ELNS1_11target_archE906ELNS1_3gpuE6ELNS1_3repE0EEENS1_30default_config_static_selectorELNS0_4arch9wavefront6targetE0EEEvT1_,comdat
	.protected	_ZN7rocprim17ROCPRIM_400000_NS6detail17trampoline_kernelINS0_14default_configENS1_29reduce_by_key_config_selectorIiiN6thrust23THRUST_200600_302600_NS4plusIiEEEEZZNS1_33reduce_by_key_impl_wrapped_configILNS1_25lookback_scan_determinismE0ES3_S9_NS6_18transform_iteratorI25linear_index_to_row_indexIiENS6_17counting_iteratorIiNS6_11use_defaultESG_SG_EESG_SG_EENS6_6detail15normal_iteratorINS6_10device_ptrIiEEEESN_SN_PmS8_NS6_8equal_toIiEEEE10hipError_tPvRmT2_T3_mT4_T5_T6_T7_T8_P12ihipStream_tbENKUlT_T0_E_clISt17integral_constantIbLb0EES18_EEDaS13_S14_EUlS13_E_NS1_11comp_targetILNS1_3genE2ELNS1_11target_archE906ELNS1_3gpuE6ELNS1_3repE0EEENS1_30default_config_static_selectorELNS0_4arch9wavefront6targetE0EEEvT1_ ; -- Begin function _ZN7rocprim17ROCPRIM_400000_NS6detail17trampoline_kernelINS0_14default_configENS1_29reduce_by_key_config_selectorIiiN6thrust23THRUST_200600_302600_NS4plusIiEEEEZZNS1_33reduce_by_key_impl_wrapped_configILNS1_25lookback_scan_determinismE0ES3_S9_NS6_18transform_iteratorI25linear_index_to_row_indexIiENS6_17counting_iteratorIiNS6_11use_defaultESG_SG_EESG_SG_EENS6_6detail15normal_iteratorINS6_10device_ptrIiEEEESN_SN_PmS8_NS6_8equal_toIiEEEE10hipError_tPvRmT2_T3_mT4_T5_T6_T7_T8_P12ihipStream_tbENKUlT_T0_E_clISt17integral_constantIbLb0EES18_EEDaS13_S14_EUlS13_E_NS1_11comp_targetILNS1_3genE2ELNS1_11target_archE906ELNS1_3gpuE6ELNS1_3repE0EEENS1_30default_config_static_selectorELNS0_4arch9wavefront6targetE0EEEvT1_
	.globl	_ZN7rocprim17ROCPRIM_400000_NS6detail17trampoline_kernelINS0_14default_configENS1_29reduce_by_key_config_selectorIiiN6thrust23THRUST_200600_302600_NS4plusIiEEEEZZNS1_33reduce_by_key_impl_wrapped_configILNS1_25lookback_scan_determinismE0ES3_S9_NS6_18transform_iteratorI25linear_index_to_row_indexIiENS6_17counting_iteratorIiNS6_11use_defaultESG_SG_EESG_SG_EENS6_6detail15normal_iteratorINS6_10device_ptrIiEEEESN_SN_PmS8_NS6_8equal_toIiEEEE10hipError_tPvRmT2_T3_mT4_T5_T6_T7_T8_P12ihipStream_tbENKUlT_T0_E_clISt17integral_constantIbLb0EES18_EEDaS13_S14_EUlS13_E_NS1_11comp_targetILNS1_3genE2ELNS1_11target_archE906ELNS1_3gpuE6ELNS1_3repE0EEENS1_30default_config_static_selectorELNS0_4arch9wavefront6targetE0EEEvT1_
	.p2align	8
	.type	_ZN7rocprim17ROCPRIM_400000_NS6detail17trampoline_kernelINS0_14default_configENS1_29reduce_by_key_config_selectorIiiN6thrust23THRUST_200600_302600_NS4plusIiEEEEZZNS1_33reduce_by_key_impl_wrapped_configILNS1_25lookback_scan_determinismE0ES3_S9_NS6_18transform_iteratorI25linear_index_to_row_indexIiENS6_17counting_iteratorIiNS6_11use_defaultESG_SG_EESG_SG_EENS6_6detail15normal_iteratorINS6_10device_ptrIiEEEESN_SN_PmS8_NS6_8equal_toIiEEEE10hipError_tPvRmT2_T3_mT4_T5_T6_T7_T8_P12ihipStream_tbENKUlT_T0_E_clISt17integral_constantIbLb0EES18_EEDaS13_S14_EUlS13_E_NS1_11comp_targetILNS1_3genE2ELNS1_11target_archE906ELNS1_3gpuE6ELNS1_3repE0EEENS1_30default_config_static_selectorELNS0_4arch9wavefront6targetE0EEEvT1_,@function
_ZN7rocprim17ROCPRIM_400000_NS6detail17trampoline_kernelINS0_14default_configENS1_29reduce_by_key_config_selectorIiiN6thrust23THRUST_200600_302600_NS4plusIiEEEEZZNS1_33reduce_by_key_impl_wrapped_configILNS1_25lookback_scan_determinismE0ES3_S9_NS6_18transform_iteratorI25linear_index_to_row_indexIiENS6_17counting_iteratorIiNS6_11use_defaultESG_SG_EESG_SG_EENS6_6detail15normal_iteratorINS6_10device_ptrIiEEEESN_SN_PmS8_NS6_8equal_toIiEEEE10hipError_tPvRmT2_T3_mT4_T5_T6_T7_T8_P12ihipStream_tbENKUlT_T0_E_clISt17integral_constantIbLb0EES18_EEDaS13_S14_EUlS13_E_NS1_11comp_targetILNS1_3genE2ELNS1_11target_archE906ELNS1_3gpuE6ELNS1_3repE0EEENS1_30default_config_static_selectorELNS0_4arch9wavefront6targetE0EEEvT1_: ; @_ZN7rocprim17ROCPRIM_400000_NS6detail17trampoline_kernelINS0_14default_configENS1_29reduce_by_key_config_selectorIiiN6thrust23THRUST_200600_302600_NS4plusIiEEEEZZNS1_33reduce_by_key_impl_wrapped_configILNS1_25lookback_scan_determinismE0ES3_S9_NS6_18transform_iteratorI25linear_index_to_row_indexIiENS6_17counting_iteratorIiNS6_11use_defaultESG_SG_EESG_SG_EENS6_6detail15normal_iteratorINS6_10device_ptrIiEEEESN_SN_PmS8_NS6_8equal_toIiEEEE10hipError_tPvRmT2_T3_mT4_T5_T6_T7_T8_P12ihipStream_tbENKUlT_T0_E_clISt17integral_constantIbLb0EES18_EEDaS13_S14_EUlS13_E_NS1_11comp_targetILNS1_3genE2ELNS1_11target_archE906ELNS1_3gpuE6ELNS1_3repE0EEENS1_30default_config_static_selectorELNS0_4arch9wavefront6targetE0EEEvT1_
; %bb.0:
	.section	.rodata,"a",@progbits
	.p2align	6, 0x0
	.amdhsa_kernel _ZN7rocprim17ROCPRIM_400000_NS6detail17trampoline_kernelINS0_14default_configENS1_29reduce_by_key_config_selectorIiiN6thrust23THRUST_200600_302600_NS4plusIiEEEEZZNS1_33reduce_by_key_impl_wrapped_configILNS1_25lookback_scan_determinismE0ES3_S9_NS6_18transform_iteratorI25linear_index_to_row_indexIiENS6_17counting_iteratorIiNS6_11use_defaultESG_SG_EESG_SG_EENS6_6detail15normal_iteratorINS6_10device_ptrIiEEEESN_SN_PmS8_NS6_8equal_toIiEEEE10hipError_tPvRmT2_T3_mT4_T5_T6_T7_T8_P12ihipStream_tbENKUlT_T0_E_clISt17integral_constantIbLb0EES18_EEDaS13_S14_EUlS13_E_NS1_11comp_targetILNS1_3genE2ELNS1_11target_archE906ELNS1_3gpuE6ELNS1_3repE0EEENS1_30default_config_static_selectorELNS0_4arch9wavefront6targetE0EEEvT1_
		.amdhsa_group_segment_fixed_size 0
		.amdhsa_private_segment_fixed_size 0
		.amdhsa_kernarg_size 120
		.amdhsa_user_sgpr_count 6
		.amdhsa_user_sgpr_private_segment_buffer 1
		.amdhsa_user_sgpr_dispatch_ptr 0
		.amdhsa_user_sgpr_queue_ptr 0
		.amdhsa_user_sgpr_kernarg_segment_ptr 1
		.amdhsa_user_sgpr_dispatch_id 0
		.amdhsa_user_sgpr_flat_scratch_init 0
		.amdhsa_user_sgpr_private_segment_size 0
		.amdhsa_wavefront_size32 1
		.amdhsa_uses_dynamic_stack 0
		.amdhsa_system_sgpr_private_segment_wavefront_offset 0
		.amdhsa_system_sgpr_workgroup_id_x 1
		.amdhsa_system_sgpr_workgroup_id_y 0
		.amdhsa_system_sgpr_workgroup_id_z 0
		.amdhsa_system_sgpr_workgroup_info 0
		.amdhsa_system_vgpr_workitem_id 0
		.amdhsa_next_free_vgpr 1
		.amdhsa_next_free_sgpr 1
		.amdhsa_reserve_vcc 0
		.amdhsa_reserve_flat_scratch 0
		.amdhsa_float_round_mode_32 0
		.amdhsa_float_round_mode_16_64 0
		.amdhsa_float_denorm_mode_32 3
		.amdhsa_float_denorm_mode_16_64 3
		.amdhsa_dx10_clamp 1
		.amdhsa_ieee_mode 1
		.amdhsa_fp16_overflow 0
		.amdhsa_workgroup_processor_mode 1
		.amdhsa_memory_ordered 1
		.amdhsa_forward_progress 1
		.amdhsa_shared_vgpr_count 0
		.amdhsa_exception_fp_ieee_invalid_op 0
		.amdhsa_exception_fp_denorm_src 0
		.amdhsa_exception_fp_ieee_div_zero 0
		.amdhsa_exception_fp_ieee_overflow 0
		.amdhsa_exception_fp_ieee_underflow 0
		.amdhsa_exception_fp_ieee_inexact 0
		.amdhsa_exception_int_div_zero 0
	.end_amdhsa_kernel
	.section	.text._ZN7rocprim17ROCPRIM_400000_NS6detail17trampoline_kernelINS0_14default_configENS1_29reduce_by_key_config_selectorIiiN6thrust23THRUST_200600_302600_NS4plusIiEEEEZZNS1_33reduce_by_key_impl_wrapped_configILNS1_25lookback_scan_determinismE0ES3_S9_NS6_18transform_iteratorI25linear_index_to_row_indexIiENS6_17counting_iteratorIiNS6_11use_defaultESG_SG_EESG_SG_EENS6_6detail15normal_iteratorINS6_10device_ptrIiEEEESN_SN_PmS8_NS6_8equal_toIiEEEE10hipError_tPvRmT2_T3_mT4_T5_T6_T7_T8_P12ihipStream_tbENKUlT_T0_E_clISt17integral_constantIbLb0EES18_EEDaS13_S14_EUlS13_E_NS1_11comp_targetILNS1_3genE2ELNS1_11target_archE906ELNS1_3gpuE6ELNS1_3repE0EEENS1_30default_config_static_selectorELNS0_4arch9wavefront6targetE0EEEvT1_,"axG",@progbits,_ZN7rocprim17ROCPRIM_400000_NS6detail17trampoline_kernelINS0_14default_configENS1_29reduce_by_key_config_selectorIiiN6thrust23THRUST_200600_302600_NS4plusIiEEEEZZNS1_33reduce_by_key_impl_wrapped_configILNS1_25lookback_scan_determinismE0ES3_S9_NS6_18transform_iteratorI25linear_index_to_row_indexIiENS6_17counting_iteratorIiNS6_11use_defaultESG_SG_EESG_SG_EENS6_6detail15normal_iteratorINS6_10device_ptrIiEEEESN_SN_PmS8_NS6_8equal_toIiEEEE10hipError_tPvRmT2_T3_mT4_T5_T6_T7_T8_P12ihipStream_tbENKUlT_T0_E_clISt17integral_constantIbLb0EES18_EEDaS13_S14_EUlS13_E_NS1_11comp_targetILNS1_3genE2ELNS1_11target_archE906ELNS1_3gpuE6ELNS1_3repE0EEENS1_30default_config_static_selectorELNS0_4arch9wavefront6targetE0EEEvT1_,comdat
.Lfunc_end15:
	.size	_ZN7rocprim17ROCPRIM_400000_NS6detail17trampoline_kernelINS0_14default_configENS1_29reduce_by_key_config_selectorIiiN6thrust23THRUST_200600_302600_NS4plusIiEEEEZZNS1_33reduce_by_key_impl_wrapped_configILNS1_25lookback_scan_determinismE0ES3_S9_NS6_18transform_iteratorI25linear_index_to_row_indexIiENS6_17counting_iteratorIiNS6_11use_defaultESG_SG_EESG_SG_EENS6_6detail15normal_iteratorINS6_10device_ptrIiEEEESN_SN_PmS8_NS6_8equal_toIiEEEE10hipError_tPvRmT2_T3_mT4_T5_T6_T7_T8_P12ihipStream_tbENKUlT_T0_E_clISt17integral_constantIbLb0EES18_EEDaS13_S14_EUlS13_E_NS1_11comp_targetILNS1_3genE2ELNS1_11target_archE906ELNS1_3gpuE6ELNS1_3repE0EEENS1_30default_config_static_selectorELNS0_4arch9wavefront6targetE0EEEvT1_, .Lfunc_end15-_ZN7rocprim17ROCPRIM_400000_NS6detail17trampoline_kernelINS0_14default_configENS1_29reduce_by_key_config_selectorIiiN6thrust23THRUST_200600_302600_NS4plusIiEEEEZZNS1_33reduce_by_key_impl_wrapped_configILNS1_25lookback_scan_determinismE0ES3_S9_NS6_18transform_iteratorI25linear_index_to_row_indexIiENS6_17counting_iteratorIiNS6_11use_defaultESG_SG_EESG_SG_EENS6_6detail15normal_iteratorINS6_10device_ptrIiEEEESN_SN_PmS8_NS6_8equal_toIiEEEE10hipError_tPvRmT2_T3_mT4_T5_T6_T7_T8_P12ihipStream_tbENKUlT_T0_E_clISt17integral_constantIbLb0EES18_EEDaS13_S14_EUlS13_E_NS1_11comp_targetILNS1_3genE2ELNS1_11target_archE906ELNS1_3gpuE6ELNS1_3repE0EEENS1_30default_config_static_selectorELNS0_4arch9wavefront6targetE0EEEvT1_
                                        ; -- End function
	.set _ZN7rocprim17ROCPRIM_400000_NS6detail17trampoline_kernelINS0_14default_configENS1_29reduce_by_key_config_selectorIiiN6thrust23THRUST_200600_302600_NS4plusIiEEEEZZNS1_33reduce_by_key_impl_wrapped_configILNS1_25lookback_scan_determinismE0ES3_S9_NS6_18transform_iteratorI25linear_index_to_row_indexIiENS6_17counting_iteratorIiNS6_11use_defaultESG_SG_EESG_SG_EENS6_6detail15normal_iteratorINS6_10device_ptrIiEEEESN_SN_PmS8_NS6_8equal_toIiEEEE10hipError_tPvRmT2_T3_mT4_T5_T6_T7_T8_P12ihipStream_tbENKUlT_T0_E_clISt17integral_constantIbLb0EES18_EEDaS13_S14_EUlS13_E_NS1_11comp_targetILNS1_3genE2ELNS1_11target_archE906ELNS1_3gpuE6ELNS1_3repE0EEENS1_30default_config_static_selectorELNS0_4arch9wavefront6targetE0EEEvT1_.num_vgpr, 0
	.set _ZN7rocprim17ROCPRIM_400000_NS6detail17trampoline_kernelINS0_14default_configENS1_29reduce_by_key_config_selectorIiiN6thrust23THRUST_200600_302600_NS4plusIiEEEEZZNS1_33reduce_by_key_impl_wrapped_configILNS1_25lookback_scan_determinismE0ES3_S9_NS6_18transform_iteratorI25linear_index_to_row_indexIiENS6_17counting_iteratorIiNS6_11use_defaultESG_SG_EESG_SG_EENS6_6detail15normal_iteratorINS6_10device_ptrIiEEEESN_SN_PmS8_NS6_8equal_toIiEEEE10hipError_tPvRmT2_T3_mT4_T5_T6_T7_T8_P12ihipStream_tbENKUlT_T0_E_clISt17integral_constantIbLb0EES18_EEDaS13_S14_EUlS13_E_NS1_11comp_targetILNS1_3genE2ELNS1_11target_archE906ELNS1_3gpuE6ELNS1_3repE0EEENS1_30default_config_static_selectorELNS0_4arch9wavefront6targetE0EEEvT1_.num_agpr, 0
	.set _ZN7rocprim17ROCPRIM_400000_NS6detail17trampoline_kernelINS0_14default_configENS1_29reduce_by_key_config_selectorIiiN6thrust23THRUST_200600_302600_NS4plusIiEEEEZZNS1_33reduce_by_key_impl_wrapped_configILNS1_25lookback_scan_determinismE0ES3_S9_NS6_18transform_iteratorI25linear_index_to_row_indexIiENS6_17counting_iteratorIiNS6_11use_defaultESG_SG_EESG_SG_EENS6_6detail15normal_iteratorINS6_10device_ptrIiEEEESN_SN_PmS8_NS6_8equal_toIiEEEE10hipError_tPvRmT2_T3_mT4_T5_T6_T7_T8_P12ihipStream_tbENKUlT_T0_E_clISt17integral_constantIbLb0EES18_EEDaS13_S14_EUlS13_E_NS1_11comp_targetILNS1_3genE2ELNS1_11target_archE906ELNS1_3gpuE6ELNS1_3repE0EEENS1_30default_config_static_selectorELNS0_4arch9wavefront6targetE0EEEvT1_.numbered_sgpr, 0
	.set _ZN7rocprim17ROCPRIM_400000_NS6detail17trampoline_kernelINS0_14default_configENS1_29reduce_by_key_config_selectorIiiN6thrust23THRUST_200600_302600_NS4plusIiEEEEZZNS1_33reduce_by_key_impl_wrapped_configILNS1_25lookback_scan_determinismE0ES3_S9_NS6_18transform_iteratorI25linear_index_to_row_indexIiENS6_17counting_iteratorIiNS6_11use_defaultESG_SG_EESG_SG_EENS6_6detail15normal_iteratorINS6_10device_ptrIiEEEESN_SN_PmS8_NS6_8equal_toIiEEEE10hipError_tPvRmT2_T3_mT4_T5_T6_T7_T8_P12ihipStream_tbENKUlT_T0_E_clISt17integral_constantIbLb0EES18_EEDaS13_S14_EUlS13_E_NS1_11comp_targetILNS1_3genE2ELNS1_11target_archE906ELNS1_3gpuE6ELNS1_3repE0EEENS1_30default_config_static_selectorELNS0_4arch9wavefront6targetE0EEEvT1_.num_named_barrier, 0
	.set _ZN7rocprim17ROCPRIM_400000_NS6detail17trampoline_kernelINS0_14default_configENS1_29reduce_by_key_config_selectorIiiN6thrust23THRUST_200600_302600_NS4plusIiEEEEZZNS1_33reduce_by_key_impl_wrapped_configILNS1_25lookback_scan_determinismE0ES3_S9_NS6_18transform_iteratorI25linear_index_to_row_indexIiENS6_17counting_iteratorIiNS6_11use_defaultESG_SG_EESG_SG_EENS6_6detail15normal_iteratorINS6_10device_ptrIiEEEESN_SN_PmS8_NS6_8equal_toIiEEEE10hipError_tPvRmT2_T3_mT4_T5_T6_T7_T8_P12ihipStream_tbENKUlT_T0_E_clISt17integral_constantIbLb0EES18_EEDaS13_S14_EUlS13_E_NS1_11comp_targetILNS1_3genE2ELNS1_11target_archE906ELNS1_3gpuE6ELNS1_3repE0EEENS1_30default_config_static_selectorELNS0_4arch9wavefront6targetE0EEEvT1_.private_seg_size, 0
	.set _ZN7rocprim17ROCPRIM_400000_NS6detail17trampoline_kernelINS0_14default_configENS1_29reduce_by_key_config_selectorIiiN6thrust23THRUST_200600_302600_NS4plusIiEEEEZZNS1_33reduce_by_key_impl_wrapped_configILNS1_25lookback_scan_determinismE0ES3_S9_NS6_18transform_iteratorI25linear_index_to_row_indexIiENS6_17counting_iteratorIiNS6_11use_defaultESG_SG_EESG_SG_EENS6_6detail15normal_iteratorINS6_10device_ptrIiEEEESN_SN_PmS8_NS6_8equal_toIiEEEE10hipError_tPvRmT2_T3_mT4_T5_T6_T7_T8_P12ihipStream_tbENKUlT_T0_E_clISt17integral_constantIbLb0EES18_EEDaS13_S14_EUlS13_E_NS1_11comp_targetILNS1_3genE2ELNS1_11target_archE906ELNS1_3gpuE6ELNS1_3repE0EEENS1_30default_config_static_selectorELNS0_4arch9wavefront6targetE0EEEvT1_.uses_vcc, 0
	.set _ZN7rocprim17ROCPRIM_400000_NS6detail17trampoline_kernelINS0_14default_configENS1_29reduce_by_key_config_selectorIiiN6thrust23THRUST_200600_302600_NS4plusIiEEEEZZNS1_33reduce_by_key_impl_wrapped_configILNS1_25lookback_scan_determinismE0ES3_S9_NS6_18transform_iteratorI25linear_index_to_row_indexIiENS6_17counting_iteratorIiNS6_11use_defaultESG_SG_EESG_SG_EENS6_6detail15normal_iteratorINS6_10device_ptrIiEEEESN_SN_PmS8_NS6_8equal_toIiEEEE10hipError_tPvRmT2_T3_mT4_T5_T6_T7_T8_P12ihipStream_tbENKUlT_T0_E_clISt17integral_constantIbLb0EES18_EEDaS13_S14_EUlS13_E_NS1_11comp_targetILNS1_3genE2ELNS1_11target_archE906ELNS1_3gpuE6ELNS1_3repE0EEENS1_30default_config_static_selectorELNS0_4arch9wavefront6targetE0EEEvT1_.uses_flat_scratch, 0
	.set _ZN7rocprim17ROCPRIM_400000_NS6detail17trampoline_kernelINS0_14default_configENS1_29reduce_by_key_config_selectorIiiN6thrust23THRUST_200600_302600_NS4plusIiEEEEZZNS1_33reduce_by_key_impl_wrapped_configILNS1_25lookback_scan_determinismE0ES3_S9_NS6_18transform_iteratorI25linear_index_to_row_indexIiENS6_17counting_iteratorIiNS6_11use_defaultESG_SG_EESG_SG_EENS6_6detail15normal_iteratorINS6_10device_ptrIiEEEESN_SN_PmS8_NS6_8equal_toIiEEEE10hipError_tPvRmT2_T3_mT4_T5_T6_T7_T8_P12ihipStream_tbENKUlT_T0_E_clISt17integral_constantIbLb0EES18_EEDaS13_S14_EUlS13_E_NS1_11comp_targetILNS1_3genE2ELNS1_11target_archE906ELNS1_3gpuE6ELNS1_3repE0EEENS1_30default_config_static_selectorELNS0_4arch9wavefront6targetE0EEEvT1_.has_dyn_sized_stack, 0
	.set _ZN7rocprim17ROCPRIM_400000_NS6detail17trampoline_kernelINS0_14default_configENS1_29reduce_by_key_config_selectorIiiN6thrust23THRUST_200600_302600_NS4plusIiEEEEZZNS1_33reduce_by_key_impl_wrapped_configILNS1_25lookback_scan_determinismE0ES3_S9_NS6_18transform_iteratorI25linear_index_to_row_indexIiENS6_17counting_iteratorIiNS6_11use_defaultESG_SG_EESG_SG_EENS6_6detail15normal_iteratorINS6_10device_ptrIiEEEESN_SN_PmS8_NS6_8equal_toIiEEEE10hipError_tPvRmT2_T3_mT4_T5_T6_T7_T8_P12ihipStream_tbENKUlT_T0_E_clISt17integral_constantIbLb0EES18_EEDaS13_S14_EUlS13_E_NS1_11comp_targetILNS1_3genE2ELNS1_11target_archE906ELNS1_3gpuE6ELNS1_3repE0EEENS1_30default_config_static_selectorELNS0_4arch9wavefront6targetE0EEEvT1_.has_recursion, 0
	.set _ZN7rocprim17ROCPRIM_400000_NS6detail17trampoline_kernelINS0_14default_configENS1_29reduce_by_key_config_selectorIiiN6thrust23THRUST_200600_302600_NS4plusIiEEEEZZNS1_33reduce_by_key_impl_wrapped_configILNS1_25lookback_scan_determinismE0ES3_S9_NS6_18transform_iteratorI25linear_index_to_row_indexIiENS6_17counting_iteratorIiNS6_11use_defaultESG_SG_EESG_SG_EENS6_6detail15normal_iteratorINS6_10device_ptrIiEEEESN_SN_PmS8_NS6_8equal_toIiEEEE10hipError_tPvRmT2_T3_mT4_T5_T6_T7_T8_P12ihipStream_tbENKUlT_T0_E_clISt17integral_constantIbLb0EES18_EEDaS13_S14_EUlS13_E_NS1_11comp_targetILNS1_3genE2ELNS1_11target_archE906ELNS1_3gpuE6ELNS1_3repE0EEENS1_30default_config_static_selectorELNS0_4arch9wavefront6targetE0EEEvT1_.has_indirect_call, 0
	.section	.AMDGPU.csdata,"",@progbits
; Kernel info:
; codeLenInByte = 0
; TotalNumSgprs: 0
; NumVgprs: 0
; ScratchSize: 0
; MemoryBound: 0
; FloatMode: 240
; IeeeMode: 1
; LDSByteSize: 0 bytes/workgroup (compile time only)
; SGPRBlocks: 0
; VGPRBlocks: 0
; NumSGPRsForWavesPerEU: 1
; NumVGPRsForWavesPerEU: 1
; Occupancy: 16
; WaveLimiterHint : 0
; COMPUTE_PGM_RSRC2:SCRATCH_EN: 0
; COMPUTE_PGM_RSRC2:USER_SGPR: 6
; COMPUTE_PGM_RSRC2:TRAP_HANDLER: 0
; COMPUTE_PGM_RSRC2:TGID_X_EN: 1
; COMPUTE_PGM_RSRC2:TGID_Y_EN: 0
; COMPUTE_PGM_RSRC2:TGID_Z_EN: 0
; COMPUTE_PGM_RSRC2:TIDIG_COMP_CNT: 0
	.section	.text._ZN7rocprim17ROCPRIM_400000_NS6detail17trampoline_kernelINS0_14default_configENS1_29reduce_by_key_config_selectorIiiN6thrust23THRUST_200600_302600_NS4plusIiEEEEZZNS1_33reduce_by_key_impl_wrapped_configILNS1_25lookback_scan_determinismE0ES3_S9_NS6_18transform_iteratorI25linear_index_to_row_indexIiENS6_17counting_iteratorIiNS6_11use_defaultESG_SG_EESG_SG_EENS6_6detail15normal_iteratorINS6_10device_ptrIiEEEESN_SN_PmS8_NS6_8equal_toIiEEEE10hipError_tPvRmT2_T3_mT4_T5_T6_T7_T8_P12ihipStream_tbENKUlT_T0_E_clISt17integral_constantIbLb0EES18_EEDaS13_S14_EUlS13_E_NS1_11comp_targetILNS1_3genE10ELNS1_11target_archE1201ELNS1_3gpuE5ELNS1_3repE0EEENS1_30default_config_static_selectorELNS0_4arch9wavefront6targetE0EEEvT1_,"axG",@progbits,_ZN7rocprim17ROCPRIM_400000_NS6detail17trampoline_kernelINS0_14default_configENS1_29reduce_by_key_config_selectorIiiN6thrust23THRUST_200600_302600_NS4plusIiEEEEZZNS1_33reduce_by_key_impl_wrapped_configILNS1_25lookback_scan_determinismE0ES3_S9_NS6_18transform_iteratorI25linear_index_to_row_indexIiENS6_17counting_iteratorIiNS6_11use_defaultESG_SG_EESG_SG_EENS6_6detail15normal_iteratorINS6_10device_ptrIiEEEESN_SN_PmS8_NS6_8equal_toIiEEEE10hipError_tPvRmT2_T3_mT4_T5_T6_T7_T8_P12ihipStream_tbENKUlT_T0_E_clISt17integral_constantIbLb0EES18_EEDaS13_S14_EUlS13_E_NS1_11comp_targetILNS1_3genE10ELNS1_11target_archE1201ELNS1_3gpuE5ELNS1_3repE0EEENS1_30default_config_static_selectorELNS0_4arch9wavefront6targetE0EEEvT1_,comdat
	.protected	_ZN7rocprim17ROCPRIM_400000_NS6detail17trampoline_kernelINS0_14default_configENS1_29reduce_by_key_config_selectorIiiN6thrust23THRUST_200600_302600_NS4plusIiEEEEZZNS1_33reduce_by_key_impl_wrapped_configILNS1_25lookback_scan_determinismE0ES3_S9_NS6_18transform_iteratorI25linear_index_to_row_indexIiENS6_17counting_iteratorIiNS6_11use_defaultESG_SG_EESG_SG_EENS6_6detail15normal_iteratorINS6_10device_ptrIiEEEESN_SN_PmS8_NS6_8equal_toIiEEEE10hipError_tPvRmT2_T3_mT4_T5_T6_T7_T8_P12ihipStream_tbENKUlT_T0_E_clISt17integral_constantIbLb0EES18_EEDaS13_S14_EUlS13_E_NS1_11comp_targetILNS1_3genE10ELNS1_11target_archE1201ELNS1_3gpuE5ELNS1_3repE0EEENS1_30default_config_static_selectorELNS0_4arch9wavefront6targetE0EEEvT1_ ; -- Begin function _ZN7rocprim17ROCPRIM_400000_NS6detail17trampoline_kernelINS0_14default_configENS1_29reduce_by_key_config_selectorIiiN6thrust23THRUST_200600_302600_NS4plusIiEEEEZZNS1_33reduce_by_key_impl_wrapped_configILNS1_25lookback_scan_determinismE0ES3_S9_NS6_18transform_iteratorI25linear_index_to_row_indexIiENS6_17counting_iteratorIiNS6_11use_defaultESG_SG_EESG_SG_EENS6_6detail15normal_iteratorINS6_10device_ptrIiEEEESN_SN_PmS8_NS6_8equal_toIiEEEE10hipError_tPvRmT2_T3_mT4_T5_T6_T7_T8_P12ihipStream_tbENKUlT_T0_E_clISt17integral_constantIbLb0EES18_EEDaS13_S14_EUlS13_E_NS1_11comp_targetILNS1_3genE10ELNS1_11target_archE1201ELNS1_3gpuE5ELNS1_3repE0EEENS1_30default_config_static_selectorELNS0_4arch9wavefront6targetE0EEEvT1_
	.globl	_ZN7rocprim17ROCPRIM_400000_NS6detail17trampoline_kernelINS0_14default_configENS1_29reduce_by_key_config_selectorIiiN6thrust23THRUST_200600_302600_NS4plusIiEEEEZZNS1_33reduce_by_key_impl_wrapped_configILNS1_25lookback_scan_determinismE0ES3_S9_NS6_18transform_iteratorI25linear_index_to_row_indexIiENS6_17counting_iteratorIiNS6_11use_defaultESG_SG_EESG_SG_EENS6_6detail15normal_iteratorINS6_10device_ptrIiEEEESN_SN_PmS8_NS6_8equal_toIiEEEE10hipError_tPvRmT2_T3_mT4_T5_T6_T7_T8_P12ihipStream_tbENKUlT_T0_E_clISt17integral_constantIbLb0EES18_EEDaS13_S14_EUlS13_E_NS1_11comp_targetILNS1_3genE10ELNS1_11target_archE1201ELNS1_3gpuE5ELNS1_3repE0EEENS1_30default_config_static_selectorELNS0_4arch9wavefront6targetE0EEEvT1_
	.p2align	8
	.type	_ZN7rocprim17ROCPRIM_400000_NS6detail17trampoline_kernelINS0_14default_configENS1_29reduce_by_key_config_selectorIiiN6thrust23THRUST_200600_302600_NS4plusIiEEEEZZNS1_33reduce_by_key_impl_wrapped_configILNS1_25lookback_scan_determinismE0ES3_S9_NS6_18transform_iteratorI25linear_index_to_row_indexIiENS6_17counting_iteratorIiNS6_11use_defaultESG_SG_EESG_SG_EENS6_6detail15normal_iteratorINS6_10device_ptrIiEEEESN_SN_PmS8_NS6_8equal_toIiEEEE10hipError_tPvRmT2_T3_mT4_T5_T6_T7_T8_P12ihipStream_tbENKUlT_T0_E_clISt17integral_constantIbLb0EES18_EEDaS13_S14_EUlS13_E_NS1_11comp_targetILNS1_3genE10ELNS1_11target_archE1201ELNS1_3gpuE5ELNS1_3repE0EEENS1_30default_config_static_selectorELNS0_4arch9wavefront6targetE0EEEvT1_,@function
_ZN7rocprim17ROCPRIM_400000_NS6detail17trampoline_kernelINS0_14default_configENS1_29reduce_by_key_config_selectorIiiN6thrust23THRUST_200600_302600_NS4plusIiEEEEZZNS1_33reduce_by_key_impl_wrapped_configILNS1_25lookback_scan_determinismE0ES3_S9_NS6_18transform_iteratorI25linear_index_to_row_indexIiENS6_17counting_iteratorIiNS6_11use_defaultESG_SG_EESG_SG_EENS6_6detail15normal_iteratorINS6_10device_ptrIiEEEESN_SN_PmS8_NS6_8equal_toIiEEEE10hipError_tPvRmT2_T3_mT4_T5_T6_T7_T8_P12ihipStream_tbENKUlT_T0_E_clISt17integral_constantIbLb0EES18_EEDaS13_S14_EUlS13_E_NS1_11comp_targetILNS1_3genE10ELNS1_11target_archE1201ELNS1_3gpuE5ELNS1_3repE0EEENS1_30default_config_static_selectorELNS0_4arch9wavefront6targetE0EEEvT1_: ; @_ZN7rocprim17ROCPRIM_400000_NS6detail17trampoline_kernelINS0_14default_configENS1_29reduce_by_key_config_selectorIiiN6thrust23THRUST_200600_302600_NS4plusIiEEEEZZNS1_33reduce_by_key_impl_wrapped_configILNS1_25lookback_scan_determinismE0ES3_S9_NS6_18transform_iteratorI25linear_index_to_row_indexIiENS6_17counting_iteratorIiNS6_11use_defaultESG_SG_EESG_SG_EENS6_6detail15normal_iteratorINS6_10device_ptrIiEEEESN_SN_PmS8_NS6_8equal_toIiEEEE10hipError_tPvRmT2_T3_mT4_T5_T6_T7_T8_P12ihipStream_tbENKUlT_T0_E_clISt17integral_constantIbLb0EES18_EEDaS13_S14_EUlS13_E_NS1_11comp_targetILNS1_3genE10ELNS1_11target_archE1201ELNS1_3gpuE5ELNS1_3repE0EEENS1_30default_config_static_selectorELNS0_4arch9wavefront6targetE0EEEvT1_
; %bb.0:
	.section	.rodata,"a",@progbits
	.p2align	6, 0x0
	.amdhsa_kernel _ZN7rocprim17ROCPRIM_400000_NS6detail17trampoline_kernelINS0_14default_configENS1_29reduce_by_key_config_selectorIiiN6thrust23THRUST_200600_302600_NS4plusIiEEEEZZNS1_33reduce_by_key_impl_wrapped_configILNS1_25lookback_scan_determinismE0ES3_S9_NS6_18transform_iteratorI25linear_index_to_row_indexIiENS6_17counting_iteratorIiNS6_11use_defaultESG_SG_EESG_SG_EENS6_6detail15normal_iteratorINS6_10device_ptrIiEEEESN_SN_PmS8_NS6_8equal_toIiEEEE10hipError_tPvRmT2_T3_mT4_T5_T6_T7_T8_P12ihipStream_tbENKUlT_T0_E_clISt17integral_constantIbLb0EES18_EEDaS13_S14_EUlS13_E_NS1_11comp_targetILNS1_3genE10ELNS1_11target_archE1201ELNS1_3gpuE5ELNS1_3repE0EEENS1_30default_config_static_selectorELNS0_4arch9wavefront6targetE0EEEvT1_
		.amdhsa_group_segment_fixed_size 0
		.amdhsa_private_segment_fixed_size 0
		.amdhsa_kernarg_size 120
		.amdhsa_user_sgpr_count 6
		.amdhsa_user_sgpr_private_segment_buffer 1
		.amdhsa_user_sgpr_dispatch_ptr 0
		.amdhsa_user_sgpr_queue_ptr 0
		.amdhsa_user_sgpr_kernarg_segment_ptr 1
		.amdhsa_user_sgpr_dispatch_id 0
		.amdhsa_user_sgpr_flat_scratch_init 0
		.amdhsa_user_sgpr_private_segment_size 0
		.amdhsa_wavefront_size32 1
		.amdhsa_uses_dynamic_stack 0
		.amdhsa_system_sgpr_private_segment_wavefront_offset 0
		.amdhsa_system_sgpr_workgroup_id_x 1
		.amdhsa_system_sgpr_workgroup_id_y 0
		.amdhsa_system_sgpr_workgroup_id_z 0
		.amdhsa_system_sgpr_workgroup_info 0
		.amdhsa_system_vgpr_workitem_id 0
		.amdhsa_next_free_vgpr 1
		.amdhsa_next_free_sgpr 1
		.amdhsa_reserve_vcc 0
		.amdhsa_reserve_flat_scratch 0
		.amdhsa_float_round_mode_32 0
		.amdhsa_float_round_mode_16_64 0
		.amdhsa_float_denorm_mode_32 3
		.amdhsa_float_denorm_mode_16_64 3
		.amdhsa_dx10_clamp 1
		.amdhsa_ieee_mode 1
		.amdhsa_fp16_overflow 0
		.amdhsa_workgroup_processor_mode 1
		.amdhsa_memory_ordered 1
		.amdhsa_forward_progress 1
		.amdhsa_shared_vgpr_count 0
		.amdhsa_exception_fp_ieee_invalid_op 0
		.amdhsa_exception_fp_denorm_src 0
		.amdhsa_exception_fp_ieee_div_zero 0
		.amdhsa_exception_fp_ieee_overflow 0
		.amdhsa_exception_fp_ieee_underflow 0
		.amdhsa_exception_fp_ieee_inexact 0
		.amdhsa_exception_int_div_zero 0
	.end_amdhsa_kernel
	.section	.text._ZN7rocprim17ROCPRIM_400000_NS6detail17trampoline_kernelINS0_14default_configENS1_29reduce_by_key_config_selectorIiiN6thrust23THRUST_200600_302600_NS4plusIiEEEEZZNS1_33reduce_by_key_impl_wrapped_configILNS1_25lookback_scan_determinismE0ES3_S9_NS6_18transform_iteratorI25linear_index_to_row_indexIiENS6_17counting_iteratorIiNS6_11use_defaultESG_SG_EESG_SG_EENS6_6detail15normal_iteratorINS6_10device_ptrIiEEEESN_SN_PmS8_NS6_8equal_toIiEEEE10hipError_tPvRmT2_T3_mT4_T5_T6_T7_T8_P12ihipStream_tbENKUlT_T0_E_clISt17integral_constantIbLb0EES18_EEDaS13_S14_EUlS13_E_NS1_11comp_targetILNS1_3genE10ELNS1_11target_archE1201ELNS1_3gpuE5ELNS1_3repE0EEENS1_30default_config_static_selectorELNS0_4arch9wavefront6targetE0EEEvT1_,"axG",@progbits,_ZN7rocprim17ROCPRIM_400000_NS6detail17trampoline_kernelINS0_14default_configENS1_29reduce_by_key_config_selectorIiiN6thrust23THRUST_200600_302600_NS4plusIiEEEEZZNS1_33reduce_by_key_impl_wrapped_configILNS1_25lookback_scan_determinismE0ES3_S9_NS6_18transform_iteratorI25linear_index_to_row_indexIiENS6_17counting_iteratorIiNS6_11use_defaultESG_SG_EESG_SG_EENS6_6detail15normal_iteratorINS6_10device_ptrIiEEEESN_SN_PmS8_NS6_8equal_toIiEEEE10hipError_tPvRmT2_T3_mT4_T5_T6_T7_T8_P12ihipStream_tbENKUlT_T0_E_clISt17integral_constantIbLb0EES18_EEDaS13_S14_EUlS13_E_NS1_11comp_targetILNS1_3genE10ELNS1_11target_archE1201ELNS1_3gpuE5ELNS1_3repE0EEENS1_30default_config_static_selectorELNS0_4arch9wavefront6targetE0EEEvT1_,comdat
.Lfunc_end16:
	.size	_ZN7rocprim17ROCPRIM_400000_NS6detail17trampoline_kernelINS0_14default_configENS1_29reduce_by_key_config_selectorIiiN6thrust23THRUST_200600_302600_NS4plusIiEEEEZZNS1_33reduce_by_key_impl_wrapped_configILNS1_25lookback_scan_determinismE0ES3_S9_NS6_18transform_iteratorI25linear_index_to_row_indexIiENS6_17counting_iteratorIiNS6_11use_defaultESG_SG_EESG_SG_EENS6_6detail15normal_iteratorINS6_10device_ptrIiEEEESN_SN_PmS8_NS6_8equal_toIiEEEE10hipError_tPvRmT2_T3_mT4_T5_T6_T7_T8_P12ihipStream_tbENKUlT_T0_E_clISt17integral_constantIbLb0EES18_EEDaS13_S14_EUlS13_E_NS1_11comp_targetILNS1_3genE10ELNS1_11target_archE1201ELNS1_3gpuE5ELNS1_3repE0EEENS1_30default_config_static_selectorELNS0_4arch9wavefront6targetE0EEEvT1_, .Lfunc_end16-_ZN7rocprim17ROCPRIM_400000_NS6detail17trampoline_kernelINS0_14default_configENS1_29reduce_by_key_config_selectorIiiN6thrust23THRUST_200600_302600_NS4plusIiEEEEZZNS1_33reduce_by_key_impl_wrapped_configILNS1_25lookback_scan_determinismE0ES3_S9_NS6_18transform_iteratorI25linear_index_to_row_indexIiENS6_17counting_iteratorIiNS6_11use_defaultESG_SG_EESG_SG_EENS6_6detail15normal_iteratorINS6_10device_ptrIiEEEESN_SN_PmS8_NS6_8equal_toIiEEEE10hipError_tPvRmT2_T3_mT4_T5_T6_T7_T8_P12ihipStream_tbENKUlT_T0_E_clISt17integral_constantIbLb0EES18_EEDaS13_S14_EUlS13_E_NS1_11comp_targetILNS1_3genE10ELNS1_11target_archE1201ELNS1_3gpuE5ELNS1_3repE0EEENS1_30default_config_static_selectorELNS0_4arch9wavefront6targetE0EEEvT1_
                                        ; -- End function
	.set _ZN7rocprim17ROCPRIM_400000_NS6detail17trampoline_kernelINS0_14default_configENS1_29reduce_by_key_config_selectorIiiN6thrust23THRUST_200600_302600_NS4plusIiEEEEZZNS1_33reduce_by_key_impl_wrapped_configILNS1_25lookback_scan_determinismE0ES3_S9_NS6_18transform_iteratorI25linear_index_to_row_indexIiENS6_17counting_iteratorIiNS6_11use_defaultESG_SG_EESG_SG_EENS6_6detail15normal_iteratorINS6_10device_ptrIiEEEESN_SN_PmS8_NS6_8equal_toIiEEEE10hipError_tPvRmT2_T3_mT4_T5_T6_T7_T8_P12ihipStream_tbENKUlT_T0_E_clISt17integral_constantIbLb0EES18_EEDaS13_S14_EUlS13_E_NS1_11comp_targetILNS1_3genE10ELNS1_11target_archE1201ELNS1_3gpuE5ELNS1_3repE0EEENS1_30default_config_static_selectorELNS0_4arch9wavefront6targetE0EEEvT1_.num_vgpr, 0
	.set _ZN7rocprim17ROCPRIM_400000_NS6detail17trampoline_kernelINS0_14default_configENS1_29reduce_by_key_config_selectorIiiN6thrust23THRUST_200600_302600_NS4plusIiEEEEZZNS1_33reduce_by_key_impl_wrapped_configILNS1_25lookback_scan_determinismE0ES3_S9_NS6_18transform_iteratorI25linear_index_to_row_indexIiENS6_17counting_iteratorIiNS6_11use_defaultESG_SG_EESG_SG_EENS6_6detail15normal_iteratorINS6_10device_ptrIiEEEESN_SN_PmS8_NS6_8equal_toIiEEEE10hipError_tPvRmT2_T3_mT4_T5_T6_T7_T8_P12ihipStream_tbENKUlT_T0_E_clISt17integral_constantIbLb0EES18_EEDaS13_S14_EUlS13_E_NS1_11comp_targetILNS1_3genE10ELNS1_11target_archE1201ELNS1_3gpuE5ELNS1_3repE0EEENS1_30default_config_static_selectorELNS0_4arch9wavefront6targetE0EEEvT1_.num_agpr, 0
	.set _ZN7rocprim17ROCPRIM_400000_NS6detail17trampoline_kernelINS0_14default_configENS1_29reduce_by_key_config_selectorIiiN6thrust23THRUST_200600_302600_NS4plusIiEEEEZZNS1_33reduce_by_key_impl_wrapped_configILNS1_25lookback_scan_determinismE0ES3_S9_NS6_18transform_iteratorI25linear_index_to_row_indexIiENS6_17counting_iteratorIiNS6_11use_defaultESG_SG_EESG_SG_EENS6_6detail15normal_iteratorINS6_10device_ptrIiEEEESN_SN_PmS8_NS6_8equal_toIiEEEE10hipError_tPvRmT2_T3_mT4_T5_T6_T7_T8_P12ihipStream_tbENKUlT_T0_E_clISt17integral_constantIbLb0EES18_EEDaS13_S14_EUlS13_E_NS1_11comp_targetILNS1_3genE10ELNS1_11target_archE1201ELNS1_3gpuE5ELNS1_3repE0EEENS1_30default_config_static_selectorELNS0_4arch9wavefront6targetE0EEEvT1_.numbered_sgpr, 0
	.set _ZN7rocprim17ROCPRIM_400000_NS6detail17trampoline_kernelINS0_14default_configENS1_29reduce_by_key_config_selectorIiiN6thrust23THRUST_200600_302600_NS4plusIiEEEEZZNS1_33reduce_by_key_impl_wrapped_configILNS1_25lookback_scan_determinismE0ES3_S9_NS6_18transform_iteratorI25linear_index_to_row_indexIiENS6_17counting_iteratorIiNS6_11use_defaultESG_SG_EESG_SG_EENS6_6detail15normal_iteratorINS6_10device_ptrIiEEEESN_SN_PmS8_NS6_8equal_toIiEEEE10hipError_tPvRmT2_T3_mT4_T5_T6_T7_T8_P12ihipStream_tbENKUlT_T0_E_clISt17integral_constantIbLb0EES18_EEDaS13_S14_EUlS13_E_NS1_11comp_targetILNS1_3genE10ELNS1_11target_archE1201ELNS1_3gpuE5ELNS1_3repE0EEENS1_30default_config_static_selectorELNS0_4arch9wavefront6targetE0EEEvT1_.num_named_barrier, 0
	.set _ZN7rocprim17ROCPRIM_400000_NS6detail17trampoline_kernelINS0_14default_configENS1_29reduce_by_key_config_selectorIiiN6thrust23THRUST_200600_302600_NS4plusIiEEEEZZNS1_33reduce_by_key_impl_wrapped_configILNS1_25lookback_scan_determinismE0ES3_S9_NS6_18transform_iteratorI25linear_index_to_row_indexIiENS6_17counting_iteratorIiNS6_11use_defaultESG_SG_EESG_SG_EENS6_6detail15normal_iteratorINS6_10device_ptrIiEEEESN_SN_PmS8_NS6_8equal_toIiEEEE10hipError_tPvRmT2_T3_mT4_T5_T6_T7_T8_P12ihipStream_tbENKUlT_T0_E_clISt17integral_constantIbLb0EES18_EEDaS13_S14_EUlS13_E_NS1_11comp_targetILNS1_3genE10ELNS1_11target_archE1201ELNS1_3gpuE5ELNS1_3repE0EEENS1_30default_config_static_selectorELNS0_4arch9wavefront6targetE0EEEvT1_.private_seg_size, 0
	.set _ZN7rocprim17ROCPRIM_400000_NS6detail17trampoline_kernelINS0_14default_configENS1_29reduce_by_key_config_selectorIiiN6thrust23THRUST_200600_302600_NS4plusIiEEEEZZNS1_33reduce_by_key_impl_wrapped_configILNS1_25lookback_scan_determinismE0ES3_S9_NS6_18transform_iteratorI25linear_index_to_row_indexIiENS6_17counting_iteratorIiNS6_11use_defaultESG_SG_EESG_SG_EENS6_6detail15normal_iteratorINS6_10device_ptrIiEEEESN_SN_PmS8_NS6_8equal_toIiEEEE10hipError_tPvRmT2_T3_mT4_T5_T6_T7_T8_P12ihipStream_tbENKUlT_T0_E_clISt17integral_constantIbLb0EES18_EEDaS13_S14_EUlS13_E_NS1_11comp_targetILNS1_3genE10ELNS1_11target_archE1201ELNS1_3gpuE5ELNS1_3repE0EEENS1_30default_config_static_selectorELNS0_4arch9wavefront6targetE0EEEvT1_.uses_vcc, 0
	.set _ZN7rocprim17ROCPRIM_400000_NS6detail17trampoline_kernelINS0_14default_configENS1_29reduce_by_key_config_selectorIiiN6thrust23THRUST_200600_302600_NS4plusIiEEEEZZNS1_33reduce_by_key_impl_wrapped_configILNS1_25lookback_scan_determinismE0ES3_S9_NS6_18transform_iteratorI25linear_index_to_row_indexIiENS6_17counting_iteratorIiNS6_11use_defaultESG_SG_EESG_SG_EENS6_6detail15normal_iteratorINS6_10device_ptrIiEEEESN_SN_PmS8_NS6_8equal_toIiEEEE10hipError_tPvRmT2_T3_mT4_T5_T6_T7_T8_P12ihipStream_tbENKUlT_T0_E_clISt17integral_constantIbLb0EES18_EEDaS13_S14_EUlS13_E_NS1_11comp_targetILNS1_3genE10ELNS1_11target_archE1201ELNS1_3gpuE5ELNS1_3repE0EEENS1_30default_config_static_selectorELNS0_4arch9wavefront6targetE0EEEvT1_.uses_flat_scratch, 0
	.set _ZN7rocprim17ROCPRIM_400000_NS6detail17trampoline_kernelINS0_14default_configENS1_29reduce_by_key_config_selectorIiiN6thrust23THRUST_200600_302600_NS4plusIiEEEEZZNS1_33reduce_by_key_impl_wrapped_configILNS1_25lookback_scan_determinismE0ES3_S9_NS6_18transform_iteratorI25linear_index_to_row_indexIiENS6_17counting_iteratorIiNS6_11use_defaultESG_SG_EESG_SG_EENS6_6detail15normal_iteratorINS6_10device_ptrIiEEEESN_SN_PmS8_NS6_8equal_toIiEEEE10hipError_tPvRmT2_T3_mT4_T5_T6_T7_T8_P12ihipStream_tbENKUlT_T0_E_clISt17integral_constantIbLb0EES18_EEDaS13_S14_EUlS13_E_NS1_11comp_targetILNS1_3genE10ELNS1_11target_archE1201ELNS1_3gpuE5ELNS1_3repE0EEENS1_30default_config_static_selectorELNS0_4arch9wavefront6targetE0EEEvT1_.has_dyn_sized_stack, 0
	.set _ZN7rocprim17ROCPRIM_400000_NS6detail17trampoline_kernelINS0_14default_configENS1_29reduce_by_key_config_selectorIiiN6thrust23THRUST_200600_302600_NS4plusIiEEEEZZNS1_33reduce_by_key_impl_wrapped_configILNS1_25lookback_scan_determinismE0ES3_S9_NS6_18transform_iteratorI25linear_index_to_row_indexIiENS6_17counting_iteratorIiNS6_11use_defaultESG_SG_EESG_SG_EENS6_6detail15normal_iteratorINS6_10device_ptrIiEEEESN_SN_PmS8_NS6_8equal_toIiEEEE10hipError_tPvRmT2_T3_mT4_T5_T6_T7_T8_P12ihipStream_tbENKUlT_T0_E_clISt17integral_constantIbLb0EES18_EEDaS13_S14_EUlS13_E_NS1_11comp_targetILNS1_3genE10ELNS1_11target_archE1201ELNS1_3gpuE5ELNS1_3repE0EEENS1_30default_config_static_selectorELNS0_4arch9wavefront6targetE0EEEvT1_.has_recursion, 0
	.set _ZN7rocprim17ROCPRIM_400000_NS6detail17trampoline_kernelINS0_14default_configENS1_29reduce_by_key_config_selectorIiiN6thrust23THRUST_200600_302600_NS4plusIiEEEEZZNS1_33reduce_by_key_impl_wrapped_configILNS1_25lookback_scan_determinismE0ES3_S9_NS6_18transform_iteratorI25linear_index_to_row_indexIiENS6_17counting_iteratorIiNS6_11use_defaultESG_SG_EESG_SG_EENS6_6detail15normal_iteratorINS6_10device_ptrIiEEEESN_SN_PmS8_NS6_8equal_toIiEEEE10hipError_tPvRmT2_T3_mT4_T5_T6_T7_T8_P12ihipStream_tbENKUlT_T0_E_clISt17integral_constantIbLb0EES18_EEDaS13_S14_EUlS13_E_NS1_11comp_targetILNS1_3genE10ELNS1_11target_archE1201ELNS1_3gpuE5ELNS1_3repE0EEENS1_30default_config_static_selectorELNS0_4arch9wavefront6targetE0EEEvT1_.has_indirect_call, 0
	.section	.AMDGPU.csdata,"",@progbits
; Kernel info:
; codeLenInByte = 0
; TotalNumSgprs: 0
; NumVgprs: 0
; ScratchSize: 0
; MemoryBound: 0
; FloatMode: 240
; IeeeMode: 1
; LDSByteSize: 0 bytes/workgroup (compile time only)
; SGPRBlocks: 0
; VGPRBlocks: 0
; NumSGPRsForWavesPerEU: 1
; NumVGPRsForWavesPerEU: 1
; Occupancy: 16
; WaveLimiterHint : 0
; COMPUTE_PGM_RSRC2:SCRATCH_EN: 0
; COMPUTE_PGM_RSRC2:USER_SGPR: 6
; COMPUTE_PGM_RSRC2:TRAP_HANDLER: 0
; COMPUTE_PGM_RSRC2:TGID_X_EN: 1
; COMPUTE_PGM_RSRC2:TGID_Y_EN: 0
; COMPUTE_PGM_RSRC2:TGID_Z_EN: 0
; COMPUTE_PGM_RSRC2:TIDIG_COMP_CNT: 0
	.section	.text._ZN7rocprim17ROCPRIM_400000_NS6detail17trampoline_kernelINS0_14default_configENS1_29reduce_by_key_config_selectorIiiN6thrust23THRUST_200600_302600_NS4plusIiEEEEZZNS1_33reduce_by_key_impl_wrapped_configILNS1_25lookback_scan_determinismE0ES3_S9_NS6_18transform_iteratorI25linear_index_to_row_indexIiENS6_17counting_iteratorIiNS6_11use_defaultESG_SG_EESG_SG_EENS6_6detail15normal_iteratorINS6_10device_ptrIiEEEESN_SN_PmS8_NS6_8equal_toIiEEEE10hipError_tPvRmT2_T3_mT4_T5_T6_T7_T8_P12ihipStream_tbENKUlT_T0_E_clISt17integral_constantIbLb0EES18_EEDaS13_S14_EUlS13_E_NS1_11comp_targetILNS1_3genE10ELNS1_11target_archE1200ELNS1_3gpuE4ELNS1_3repE0EEENS1_30default_config_static_selectorELNS0_4arch9wavefront6targetE0EEEvT1_,"axG",@progbits,_ZN7rocprim17ROCPRIM_400000_NS6detail17trampoline_kernelINS0_14default_configENS1_29reduce_by_key_config_selectorIiiN6thrust23THRUST_200600_302600_NS4plusIiEEEEZZNS1_33reduce_by_key_impl_wrapped_configILNS1_25lookback_scan_determinismE0ES3_S9_NS6_18transform_iteratorI25linear_index_to_row_indexIiENS6_17counting_iteratorIiNS6_11use_defaultESG_SG_EESG_SG_EENS6_6detail15normal_iteratorINS6_10device_ptrIiEEEESN_SN_PmS8_NS6_8equal_toIiEEEE10hipError_tPvRmT2_T3_mT4_T5_T6_T7_T8_P12ihipStream_tbENKUlT_T0_E_clISt17integral_constantIbLb0EES18_EEDaS13_S14_EUlS13_E_NS1_11comp_targetILNS1_3genE10ELNS1_11target_archE1200ELNS1_3gpuE4ELNS1_3repE0EEENS1_30default_config_static_selectorELNS0_4arch9wavefront6targetE0EEEvT1_,comdat
	.protected	_ZN7rocprim17ROCPRIM_400000_NS6detail17trampoline_kernelINS0_14default_configENS1_29reduce_by_key_config_selectorIiiN6thrust23THRUST_200600_302600_NS4plusIiEEEEZZNS1_33reduce_by_key_impl_wrapped_configILNS1_25lookback_scan_determinismE0ES3_S9_NS6_18transform_iteratorI25linear_index_to_row_indexIiENS6_17counting_iteratorIiNS6_11use_defaultESG_SG_EESG_SG_EENS6_6detail15normal_iteratorINS6_10device_ptrIiEEEESN_SN_PmS8_NS6_8equal_toIiEEEE10hipError_tPvRmT2_T3_mT4_T5_T6_T7_T8_P12ihipStream_tbENKUlT_T0_E_clISt17integral_constantIbLb0EES18_EEDaS13_S14_EUlS13_E_NS1_11comp_targetILNS1_3genE10ELNS1_11target_archE1200ELNS1_3gpuE4ELNS1_3repE0EEENS1_30default_config_static_selectorELNS0_4arch9wavefront6targetE0EEEvT1_ ; -- Begin function _ZN7rocprim17ROCPRIM_400000_NS6detail17trampoline_kernelINS0_14default_configENS1_29reduce_by_key_config_selectorIiiN6thrust23THRUST_200600_302600_NS4plusIiEEEEZZNS1_33reduce_by_key_impl_wrapped_configILNS1_25lookback_scan_determinismE0ES3_S9_NS6_18transform_iteratorI25linear_index_to_row_indexIiENS6_17counting_iteratorIiNS6_11use_defaultESG_SG_EESG_SG_EENS6_6detail15normal_iteratorINS6_10device_ptrIiEEEESN_SN_PmS8_NS6_8equal_toIiEEEE10hipError_tPvRmT2_T3_mT4_T5_T6_T7_T8_P12ihipStream_tbENKUlT_T0_E_clISt17integral_constantIbLb0EES18_EEDaS13_S14_EUlS13_E_NS1_11comp_targetILNS1_3genE10ELNS1_11target_archE1200ELNS1_3gpuE4ELNS1_3repE0EEENS1_30default_config_static_selectorELNS0_4arch9wavefront6targetE0EEEvT1_
	.globl	_ZN7rocprim17ROCPRIM_400000_NS6detail17trampoline_kernelINS0_14default_configENS1_29reduce_by_key_config_selectorIiiN6thrust23THRUST_200600_302600_NS4plusIiEEEEZZNS1_33reduce_by_key_impl_wrapped_configILNS1_25lookback_scan_determinismE0ES3_S9_NS6_18transform_iteratorI25linear_index_to_row_indexIiENS6_17counting_iteratorIiNS6_11use_defaultESG_SG_EESG_SG_EENS6_6detail15normal_iteratorINS6_10device_ptrIiEEEESN_SN_PmS8_NS6_8equal_toIiEEEE10hipError_tPvRmT2_T3_mT4_T5_T6_T7_T8_P12ihipStream_tbENKUlT_T0_E_clISt17integral_constantIbLb0EES18_EEDaS13_S14_EUlS13_E_NS1_11comp_targetILNS1_3genE10ELNS1_11target_archE1200ELNS1_3gpuE4ELNS1_3repE0EEENS1_30default_config_static_selectorELNS0_4arch9wavefront6targetE0EEEvT1_
	.p2align	8
	.type	_ZN7rocprim17ROCPRIM_400000_NS6detail17trampoline_kernelINS0_14default_configENS1_29reduce_by_key_config_selectorIiiN6thrust23THRUST_200600_302600_NS4plusIiEEEEZZNS1_33reduce_by_key_impl_wrapped_configILNS1_25lookback_scan_determinismE0ES3_S9_NS6_18transform_iteratorI25linear_index_to_row_indexIiENS6_17counting_iteratorIiNS6_11use_defaultESG_SG_EESG_SG_EENS6_6detail15normal_iteratorINS6_10device_ptrIiEEEESN_SN_PmS8_NS6_8equal_toIiEEEE10hipError_tPvRmT2_T3_mT4_T5_T6_T7_T8_P12ihipStream_tbENKUlT_T0_E_clISt17integral_constantIbLb0EES18_EEDaS13_S14_EUlS13_E_NS1_11comp_targetILNS1_3genE10ELNS1_11target_archE1200ELNS1_3gpuE4ELNS1_3repE0EEENS1_30default_config_static_selectorELNS0_4arch9wavefront6targetE0EEEvT1_,@function
_ZN7rocprim17ROCPRIM_400000_NS6detail17trampoline_kernelINS0_14default_configENS1_29reduce_by_key_config_selectorIiiN6thrust23THRUST_200600_302600_NS4plusIiEEEEZZNS1_33reduce_by_key_impl_wrapped_configILNS1_25lookback_scan_determinismE0ES3_S9_NS6_18transform_iteratorI25linear_index_to_row_indexIiENS6_17counting_iteratorIiNS6_11use_defaultESG_SG_EESG_SG_EENS6_6detail15normal_iteratorINS6_10device_ptrIiEEEESN_SN_PmS8_NS6_8equal_toIiEEEE10hipError_tPvRmT2_T3_mT4_T5_T6_T7_T8_P12ihipStream_tbENKUlT_T0_E_clISt17integral_constantIbLb0EES18_EEDaS13_S14_EUlS13_E_NS1_11comp_targetILNS1_3genE10ELNS1_11target_archE1200ELNS1_3gpuE4ELNS1_3repE0EEENS1_30default_config_static_selectorELNS0_4arch9wavefront6targetE0EEEvT1_: ; @_ZN7rocprim17ROCPRIM_400000_NS6detail17trampoline_kernelINS0_14default_configENS1_29reduce_by_key_config_selectorIiiN6thrust23THRUST_200600_302600_NS4plusIiEEEEZZNS1_33reduce_by_key_impl_wrapped_configILNS1_25lookback_scan_determinismE0ES3_S9_NS6_18transform_iteratorI25linear_index_to_row_indexIiENS6_17counting_iteratorIiNS6_11use_defaultESG_SG_EESG_SG_EENS6_6detail15normal_iteratorINS6_10device_ptrIiEEEESN_SN_PmS8_NS6_8equal_toIiEEEE10hipError_tPvRmT2_T3_mT4_T5_T6_T7_T8_P12ihipStream_tbENKUlT_T0_E_clISt17integral_constantIbLb0EES18_EEDaS13_S14_EUlS13_E_NS1_11comp_targetILNS1_3genE10ELNS1_11target_archE1200ELNS1_3gpuE4ELNS1_3repE0EEENS1_30default_config_static_selectorELNS0_4arch9wavefront6targetE0EEEvT1_
; %bb.0:
	.section	.rodata,"a",@progbits
	.p2align	6, 0x0
	.amdhsa_kernel _ZN7rocprim17ROCPRIM_400000_NS6detail17trampoline_kernelINS0_14default_configENS1_29reduce_by_key_config_selectorIiiN6thrust23THRUST_200600_302600_NS4plusIiEEEEZZNS1_33reduce_by_key_impl_wrapped_configILNS1_25lookback_scan_determinismE0ES3_S9_NS6_18transform_iteratorI25linear_index_to_row_indexIiENS6_17counting_iteratorIiNS6_11use_defaultESG_SG_EESG_SG_EENS6_6detail15normal_iteratorINS6_10device_ptrIiEEEESN_SN_PmS8_NS6_8equal_toIiEEEE10hipError_tPvRmT2_T3_mT4_T5_T6_T7_T8_P12ihipStream_tbENKUlT_T0_E_clISt17integral_constantIbLb0EES18_EEDaS13_S14_EUlS13_E_NS1_11comp_targetILNS1_3genE10ELNS1_11target_archE1200ELNS1_3gpuE4ELNS1_3repE0EEENS1_30default_config_static_selectorELNS0_4arch9wavefront6targetE0EEEvT1_
		.amdhsa_group_segment_fixed_size 0
		.amdhsa_private_segment_fixed_size 0
		.amdhsa_kernarg_size 120
		.amdhsa_user_sgpr_count 6
		.amdhsa_user_sgpr_private_segment_buffer 1
		.amdhsa_user_sgpr_dispatch_ptr 0
		.amdhsa_user_sgpr_queue_ptr 0
		.amdhsa_user_sgpr_kernarg_segment_ptr 1
		.amdhsa_user_sgpr_dispatch_id 0
		.amdhsa_user_sgpr_flat_scratch_init 0
		.amdhsa_user_sgpr_private_segment_size 0
		.amdhsa_wavefront_size32 1
		.amdhsa_uses_dynamic_stack 0
		.amdhsa_system_sgpr_private_segment_wavefront_offset 0
		.amdhsa_system_sgpr_workgroup_id_x 1
		.amdhsa_system_sgpr_workgroup_id_y 0
		.amdhsa_system_sgpr_workgroup_id_z 0
		.amdhsa_system_sgpr_workgroup_info 0
		.amdhsa_system_vgpr_workitem_id 0
		.amdhsa_next_free_vgpr 1
		.amdhsa_next_free_sgpr 1
		.amdhsa_reserve_vcc 0
		.amdhsa_reserve_flat_scratch 0
		.amdhsa_float_round_mode_32 0
		.amdhsa_float_round_mode_16_64 0
		.amdhsa_float_denorm_mode_32 3
		.amdhsa_float_denorm_mode_16_64 3
		.amdhsa_dx10_clamp 1
		.amdhsa_ieee_mode 1
		.amdhsa_fp16_overflow 0
		.amdhsa_workgroup_processor_mode 1
		.amdhsa_memory_ordered 1
		.amdhsa_forward_progress 1
		.amdhsa_shared_vgpr_count 0
		.amdhsa_exception_fp_ieee_invalid_op 0
		.amdhsa_exception_fp_denorm_src 0
		.amdhsa_exception_fp_ieee_div_zero 0
		.amdhsa_exception_fp_ieee_overflow 0
		.amdhsa_exception_fp_ieee_underflow 0
		.amdhsa_exception_fp_ieee_inexact 0
		.amdhsa_exception_int_div_zero 0
	.end_amdhsa_kernel
	.section	.text._ZN7rocprim17ROCPRIM_400000_NS6detail17trampoline_kernelINS0_14default_configENS1_29reduce_by_key_config_selectorIiiN6thrust23THRUST_200600_302600_NS4plusIiEEEEZZNS1_33reduce_by_key_impl_wrapped_configILNS1_25lookback_scan_determinismE0ES3_S9_NS6_18transform_iteratorI25linear_index_to_row_indexIiENS6_17counting_iteratorIiNS6_11use_defaultESG_SG_EESG_SG_EENS6_6detail15normal_iteratorINS6_10device_ptrIiEEEESN_SN_PmS8_NS6_8equal_toIiEEEE10hipError_tPvRmT2_T3_mT4_T5_T6_T7_T8_P12ihipStream_tbENKUlT_T0_E_clISt17integral_constantIbLb0EES18_EEDaS13_S14_EUlS13_E_NS1_11comp_targetILNS1_3genE10ELNS1_11target_archE1200ELNS1_3gpuE4ELNS1_3repE0EEENS1_30default_config_static_selectorELNS0_4arch9wavefront6targetE0EEEvT1_,"axG",@progbits,_ZN7rocprim17ROCPRIM_400000_NS6detail17trampoline_kernelINS0_14default_configENS1_29reduce_by_key_config_selectorIiiN6thrust23THRUST_200600_302600_NS4plusIiEEEEZZNS1_33reduce_by_key_impl_wrapped_configILNS1_25lookback_scan_determinismE0ES3_S9_NS6_18transform_iteratorI25linear_index_to_row_indexIiENS6_17counting_iteratorIiNS6_11use_defaultESG_SG_EESG_SG_EENS6_6detail15normal_iteratorINS6_10device_ptrIiEEEESN_SN_PmS8_NS6_8equal_toIiEEEE10hipError_tPvRmT2_T3_mT4_T5_T6_T7_T8_P12ihipStream_tbENKUlT_T0_E_clISt17integral_constantIbLb0EES18_EEDaS13_S14_EUlS13_E_NS1_11comp_targetILNS1_3genE10ELNS1_11target_archE1200ELNS1_3gpuE4ELNS1_3repE0EEENS1_30default_config_static_selectorELNS0_4arch9wavefront6targetE0EEEvT1_,comdat
.Lfunc_end17:
	.size	_ZN7rocprim17ROCPRIM_400000_NS6detail17trampoline_kernelINS0_14default_configENS1_29reduce_by_key_config_selectorIiiN6thrust23THRUST_200600_302600_NS4plusIiEEEEZZNS1_33reduce_by_key_impl_wrapped_configILNS1_25lookback_scan_determinismE0ES3_S9_NS6_18transform_iteratorI25linear_index_to_row_indexIiENS6_17counting_iteratorIiNS6_11use_defaultESG_SG_EESG_SG_EENS6_6detail15normal_iteratorINS6_10device_ptrIiEEEESN_SN_PmS8_NS6_8equal_toIiEEEE10hipError_tPvRmT2_T3_mT4_T5_T6_T7_T8_P12ihipStream_tbENKUlT_T0_E_clISt17integral_constantIbLb0EES18_EEDaS13_S14_EUlS13_E_NS1_11comp_targetILNS1_3genE10ELNS1_11target_archE1200ELNS1_3gpuE4ELNS1_3repE0EEENS1_30default_config_static_selectorELNS0_4arch9wavefront6targetE0EEEvT1_, .Lfunc_end17-_ZN7rocprim17ROCPRIM_400000_NS6detail17trampoline_kernelINS0_14default_configENS1_29reduce_by_key_config_selectorIiiN6thrust23THRUST_200600_302600_NS4plusIiEEEEZZNS1_33reduce_by_key_impl_wrapped_configILNS1_25lookback_scan_determinismE0ES3_S9_NS6_18transform_iteratorI25linear_index_to_row_indexIiENS6_17counting_iteratorIiNS6_11use_defaultESG_SG_EESG_SG_EENS6_6detail15normal_iteratorINS6_10device_ptrIiEEEESN_SN_PmS8_NS6_8equal_toIiEEEE10hipError_tPvRmT2_T3_mT4_T5_T6_T7_T8_P12ihipStream_tbENKUlT_T0_E_clISt17integral_constantIbLb0EES18_EEDaS13_S14_EUlS13_E_NS1_11comp_targetILNS1_3genE10ELNS1_11target_archE1200ELNS1_3gpuE4ELNS1_3repE0EEENS1_30default_config_static_selectorELNS0_4arch9wavefront6targetE0EEEvT1_
                                        ; -- End function
	.set _ZN7rocprim17ROCPRIM_400000_NS6detail17trampoline_kernelINS0_14default_configENS1_29reduce_by_key_config_selectorIiiN6thrust23THRUST_200600_302600_NS4plusIiEEEEZZNS1_33reduce_by_key_impl_wrapped_configILNS1_25lookback_scan_determinismE0ES3_S9_NS6_18transform_iteratorI25linear_index_to_row_indexIiENS6_17counting_iteratorIiNS6_11use_defaultESG_SG_EESG_SG_EENS6_6detail15normal_iteratorINS6_10device_ptrIiEEEESN_SN_PmS8_NS6_8equal_toIiEEEE10hipError_tPvRmT2_T3_mT4_T5_T6_T7_T8_P12ihipStream_tbENKUlT_T0_E_clISt17integral_constantIbLb0EES18_EEDaS13_S14_EUlS13_E_NS1_11comp_targetILNS1_3genE10ELNS1_11target_archE1200ELNS1_3gpuE4ELNS1_3repE0EEENS1_30default_config_static_selectorELNS0_4arch9wavefront6targetE0EEEvT1_.num_vgpr, 0
	.set _ZN7rocprim17ROCPRIM_400000_NS6detail17trampoline_kernelINS0_14default_configENS1_29reduce_by_key_config_selectorIiiN6thrust23THRUST_200600_302600_NS4plusIiEEEEZZNS1_33reduce_by_key_impl_wrapped_configILNS1_25lookback_scan_determinismE0ES3_S9_NS6_18transform_iteratorI25linear_index_to_row_indexIiENS6_17counting_iteratorIiNS6_11use_defaultESG_SG_EESG_SG_EENS6_6detail15normal_iteratorINS6_10device_ptrIiEEEESN_SN_PmS8_NS6_8equal_toIiEEEE10hipError_tPvRmT2_T3_mT4_T5_T6_T7_T8_P12ihipStream_tbENKUlT_T0_E_clISt17integral_constantIbLb0EES18_EEDaS13_S14_EUlS13_E_NS1_11comp_targetILNS1_3genE10ELNS1_11target_archE1200ELNS1_3gpuE4ELNS1_3repE0EEENS1_30default_config_static_selectorELNS0_4arch9wavefront6targetE0EEEvT1_.num_agpr, 0
	.set _ZN7rocprim17ROCPRIM_400000_NS6detail17trampoline_kernelINS0_14default_configENS1_29reduce_by_key_config_selectorIiiN6thrust23THRUST_200600_302600_NS4plusIiEEEEZZNS1_33reduce_by_key_impl_wrapped_configILNS1_25lookback_scan_determinismE0ES3_S9_NS6_18transform_iteratorI25linear_index_to_row_indexIiENS6_17counting_iteratorIiNS6_11use_defaultESG_SG_EESG_SG_EENS6_6detail15normal_iteratorINS6_10device_ptrIiEEEESN_SN_PmS8_NS6_8equal_toIiEEEE10hipError_tPvRmT2_T3_mT4_T5_T6_T7_T8_P12ihipStream_tbENKUlT_T0_E_clISt17integral_constantIbLb0EES18_EEDaS13_S14_EUlS13_E_NS1_11comp_targetILNS1_3genE10ELNS1_11target_archE1200ELNS1_3gpuE4ELNS1_3repE0EEENS1_30default_config_static_selectorELNS0_4arch9wavefront6targetE0EEEvT1_.numbered_sgpr, 0
	.set _ZN7rocprim17ROCPRIM_400000_NS6detail17trampoline_kernelINS0_14default_configENS1_29reduce_by_key_config_selectorIiiN6thrust23THRUST_200600_302600_NS4plusIiEEEEZZNS1_33reduce_by_key_impl_wrapped_configILNS1_25lookback_scan_determinismE0ES3_S9_NS6_18transform_iteratorI25linear_index_to_row_indexIiENS6_17counting_iteratorIiNS6_11use_defaultESG_SG_EESG_SG_EENS6_6detail15normal_iteratorINS6_10device_ptrIiEEEESN_SN_PmS8_NS6_8equal_toIiEEEE10hipError_tPvRmT2_T3_mT4_T5_T6_T7_T8_P12ihipStream_tbENKUlT_T0_E_clISt17integral_constantIbLb0EES18_EEDaS13_S14_EUlS13_E_NS1_11comp_targetILNS1_3genE10ELNS1_11target_archE1200ELNS1_3gpuE4ELNS1_3repE0EEENS1_30default_config_static_selectorELNS0_4arch9wavefront6targetE0EEEvT1_.num_named_barrier, 0
	.set _ZN7rocprim17ROCPRIM_400000_NS6detail17trampoline_kernelINS0_14default_configENS1_29reduce_by_key_config_selectorIiiN6thrust23THRUST_200600_302600_NS4plusIiEEEEZZNS1_33reduce_by_key_impl_wrapped_configILNS1_25lookback_scan_determinismE0ES3_S9_NS6_18transform_iteratorI25linear_index_to_row_indexIiENS6_17counting_iteratorIiNS6_11use_defaultESG_SG_EESG_SG_EENS6_6detail15normal_iteratorINS6_10device_ptrIiEEEESN_SN_PmS8_NS6_8equal_toIiEEEE10hipError_tPvRmT2_T3_mT4_T5_T6_T7_T8_P12ihipStream_tbENKUlT_T0_E_clISt17integral_constantIbLb0EES18_EEDaS13_S14_EUlS13_E_NS1_11comp_targetILNS1_3genE10ELNS1_11target_archE1200ELNS1_3gpuE4ELNS1_3repE0EEENS1_30default_config_static_selectorELNS0_4arch9wavefront6targetE0EEEvT1_.private_seg_size, 0
	.set _ZN7rocprim17ROCPRIM_400000_NS6detail17trampoline_kernelINS0_14default_configENS1_29reduce_by_key_config_selectorIiiN6thrust23THRUST_200600_302600_NS4plusIiEEEEZZNS1_33reduce_by_key_impl_wrapped_configILNS1_25lookback_scan_determinismE0ES3_S9_NS6_18transform_iteratorI25linear_index_to_row_indexIiENS6_17counting_iteratorIiNS6_11use_defaultESG_SG_EESG_SG_EENS6_6detail15normal_iteratorINS6_10device_ptrIiEEEESN_SN_PmS8_NS6_8equal_toIiEEEE10hipError_tPvRmT2_T3_mT4_T5_T6_T7_T8_P12ihipStream_tbENKUlT_T0_E_clISt17integral_constantIbLb0EES18_EEDaS13_S14_EUlS13_E_NS1_11comp_targetILNS1_3genE10ELNS1_11target_archE1200ELNS1_3gpuE4ELNS1_3repE0EEENS1_30default_config_static_selectorELNS0_4arch9wavefront6targetE0EEEvT1_.uses_vcc, 0
	.set _ZN7rocprim17ROCPRIM_400000_NS6detail17trampoline_kernelINS0_14default_configENS1_29reduce_by_key_config_selectorIiiN6thrust23THRUST_200600_302600_NS4plusIiEEEEZZNS1_33reduce_by_key_impl_wrapped_configILNS1_25lookback_scan_determinismE0ES3_S9_NS6_18transform_iteratorI25linear_index_to_row_indexIiENS6_17counting_iteratorIiNS6_11use_defaultESG_SG_EESG_SG_EENS6_6detail15normal_iteratorINS6_10device_ptrIiEEEESN_SN_PmS8_NS6_8equal_toIiEEEE10hipError_tPvRmT2_T3_mT4_T5_T6_T7_T8_P12ihipStream_tbENKUlT_T0_E_clISt17integral_constantIbLb0EES18_EEDaS13_S14_EUlS13_E_NS1_11comp_targetILNS1_3genE10ELNS1_11target_archE1200ELNS1_3gpuE4ELNS1_3repE0EEENS1_30default_config_static_selectorELNS0_4arch9wavefront6targetE0EEEvT1_.uses_flat_scratch, 0
	.set _ZN7rocprim17ROCPRIM_400000_NS6detail17trampoline_kernelINS0_14default_configENS1_29reduce_by_key_config_selectorIiiN6thrust23THRUST_200600_302600_NS4plusIiEEEEZZNS1_33reduce_by_key_impl_wrapped_configILNS1_25lookback_scan_determinismE0ES3_S9_NS6_18transform_iteratorI25linear_index_to_row_indexIiENS6_17counting_iteratorIiNS6_11use_defaultESG_SG_EESG_SG_EENS6_6detail15normal_iteratorINS6_10device_ptrIiEEEESN_SN_PmS8_NS6_8equal_toIiEEEE10hipError_tPvRmT2_T3_mT4_T5_T6_T7_T8_P12ihipStream_tbENKUlT_T0_E_clISt17integral_constantIbLb0EES18_EEDaS13_S14_EUlS13_E_NS1_11comp_targetILNS1_3genE10ELNS1_11target_archE1200ELNS1_3gpuE4ELNS1_3repE0EEENS1_30default_config_static_selectorELNS0_4arch9wavefront6targetE0EEEvT1_.has_dyn_sized_stack, 0
	.set _ZN7rocprim17ROCPRIM_400000_NS6detail17trampoline_kernelINS0_14default_configENS1_29reduce_by_key_config_selectorIiiN6thrust23THRUST_200600_302600_NS4plusIiEEEEZZNS1_33reduce_by_key_impl_wrapped_configILNS1_25lookback_scan_determinismE0ES3_S9_NS6_18transform_iteratorI25linear_index_to_row_indexIiENS6_17counting_iteratorIiNS6_11use_defaultESG_SG_EESG_SG_EENS6_6detail15normal_iteratorINS6_10device_ptrIiEEEESN_SN_PmS8_NS6_8equal_toIiEEEE10hipError_tPvRmT2_T3_mT4_T5_T6_T7_T8_P12ihipStream_tbENKUlT_T0_E_clISt17integral_constantIbLb0EES18_EEDaS13_S14_EUlS13_E_NS1_11comp_targetILNS1_3genE10ELNS1_11target_archE1200ELNS1_3gpuE4ELNS1_3repE0EEENS1_30default_config_static_selectorELNS0_4arch9wavefront6targetE0EEEvT1_.has_recursion, 0
	.set _ZN7rocprim17ROCPRIM_400000_NS6detail17trampoline_kernelINS0_14default_configENS1_29reduce_by_key_config_selectorIiiN6thrust23THRUST_200600_302600_NS4plusIiEEEEZZNS1_33reduce_by_key_impl_wrapped_configILNS1_25lookback_scan_determinismE0ES3_S9_NS6_18transform_iteratorI25linear_index_to_row_indexIiENS6_17counting_iteratorIiNS6_11use_defaultESG_SG_EESG_SG_EENS6_6detail15normal_iteratorINS6_10device_ptrIiEEEESN_SN_PmS8_NS6_8equal_toIiEEEE10hipError_tPvRmT2_T3_mT4_T5_T6_T7_T8_P12ihipStream_tbENKUlT_T0_E_clISt17integral_constantIbLb0EES18_EEDaS13_S14_EUlS13_E_NS1_11comp_targetILNS1_3genE10ELNS1_11target_archE1200ELNS1_3gpuE4ELNS1_3repE0EEENS1_30default_config_static_selectorELNS0_4arch9wavefront6targetE0EEEvT1_.has_indirect_call, 0
	.section	.AMDGPU.csdata,"",@progbits
; Kernel info:
; codeLenInByte = 0
; TotalNumSgprs: 0
; NumVgprs: 0
; ScratchSize: 0
; MemoryBound: 0
; FloatMode: 240
; IeeeMode: 1
; LDSByteSize: 0 bytes/workgroup (compile time only)
; SGPRBlocks: 0
; VGPRBlocks: 0
; NumSGPRsForWavesPerEU: 1
; NumVGPRsForWavesPerEU: 1
; Occupancy: 16
; WaveLimiterHint : 0
; COMPUTE_PGM_RSRC2:SCRATCH_EN: 0
; COMPUTE_PGM_RSRC2:USER_SGPR: 6
; COMPUTE_PGM_RSRC2:TRAP_HANDLER: 0
; COMPUTE_PGM_RSRC2:TGID_X_EN: 1
; COMPUTE_PGM_RSRC2:TGID_Y_EN: 0
; COMPUTE_PGM_RSRC2:TGID_Z_EN: 0
; COMPUTE_PGM_RSRC2:TIDIG_COMP_CNT: 0
	.section	.text._ZN7rocprim17ROCPRIM_400000_NS6detail17trampoline_kernelINS0_14default_configENS1_29reduce_by_key_config_selectorIiiN6thrust23THRUST_200600_302600_NS4plusIiEEEEZZNS1_33reduce_by_key_impl_wrapped_configILNS1_25lookback_scan_determinismE0ES3_S9_NS6_18transform_iteratorI25linear_index_to_row_indexIiENS6_17counting_iteratorIiNS6_11use_defaultESG_SG_EESG_SG_EENS6_6detail15normal_iteratorINS6_10device_ptrIiEEEESN_SN_PmS8_NS6_8equal_toIiEEEE10hipError_tPvRmT2_T3_mT4_T5_T6_T7_T8_P12ihipStream_tbENKUlT_T0_E_clISt17integral_constantIbLb0EES18_EEDaS13_S14_EUlS13_E_NS1_11comp_targetILNS1_3genE9ELNS1_11target_archE1100ELNS1_3gpuE3ELNS1_3repE0EEENS1_30default_config_static_selectorELNS0_4arch9wavefront6targetE0EEEvT1_,"axG",@progbits,_ZN7rocprim17ROCPRIM_400000_NS6detail17trampoline_kernelINS0_14default_configENS1_29reduce_by_key_config_selectorIiiN6thrust23THRUST_200600_302600_NS4plusIiEEEEZZNS1_33reduce_by_key_impl_wrapped_configILNS1_25lookback_scan_determinismE0ES3_S9_NS6_18transform_iteratorI25linear_index_to_row_indexIiENS6_17counting_iteratorIiNS6_11use_defaultESG_SG_EESG_SG_EENS6_6detail15normal_iteratorINS6_10device_ptrIiEEEESN_SN_PmS8_NS6_8equal_toIiEEEE10hipError_tPvRmT2_T3_mT4_T5_T6_T7_T8_P12ihipStream_tbENKUlT_T0_E_clISt17integral_constantIbLb0EES18_EEDaS13_S14_EUlS13_E_NS1_11comp_targetILNS1_3genE9ELNS1_11target_archE1100ELNS1_3gpuE3ELNS1_3repE0EEENS1_30default_config_static_selectorELNS0_4arch9wavefront6targetE0EEEvT1_,comdat
	.protected	_ZN7rocprim17ROCPRIM_400000_NS6detail17trampoline_kernelINS0_14default_configENS1_29reduce_by_key_config_selectorIiiN6thrust23THRUST_200600_302600_NS4plusIiEEEEZZNS1_33reduce_by_key_impl_wrapped_configILNS1_25lookback_scan_determinismE0ES3_S9_NS6_18transform_iteratorI25linear_index_to_row_indexIiENS6_17counting_iteratorIiNS6_11use_defaultESG_SG_EESG_SG_EENS6_6detail15normal_iteratorINS6_10device_ptrIiEEEESN_SN_PmS8_NS6_8equal_toIiEEEE10hipError_tPvRmT2_T3_mT4_T5_T6_T7_T8_P12ihipStream_tbENKUlT_T0_E_clISt17integral_constantIbLb0EES18_EEDaS13_S14_EUlS13_E_NS1_11comp_targetILNS1_3genE9ELNS1_11target_archE1100ELNS1_3gpuE3ELNS1_3repE0EEENS1_30default_config_static_selectorELNS0_4arch9wavefront6targetE0EEEvT1_ ; -- Begin function _ZN7rocprim17ROCPRIM_400000_NS6detail17trampoline_kernelINS0_14default_configENS1_29reduce_by_key_config_selectorIiiN6thrust23THRUST_200600_302600_NS4plusIiEEEEZZNS1_33reduce_by_key_impl_wrapped_configILNS1_25lookback_scan_determinismE0ES3_S9_NS6_18transform_iteratorI25linear_index_to_row_indexIiENS6_17counting_iteratorIiNS6_11use_defaultESG_SG_EESG_SG_EENS6_6detail15normal_iteratorINS6_10device_ptrIiEEEESN_SN_PmS8_NS6_8equal_toIiEEEE10hipError_tPvRmT2_T3_mT4_T5_T6_T7_T8_P12ihipStream_tbENKUlT_T0_E_clISt17integral_constantIbLb0EES18_EEDaS13_S14_EUlS13_E_NS1_11comp_targetILNS1_3genE9ELNS1_11target_archE1100ELNS1_3gpuE3ELNS1_3repE0EEENS1_30default_config_static_selectorELNS0_4arch9wavefront6targetE0EEEvT1_
	.globl	_ZN7rocprim17ROCPRIM_400000_NS6detail17trampoline_kernelINS0_14default_configENS1_29reduce_by_key_config_selectorIiiN6thrust23THRUST_200600_302600_NS4plusIiEEEEZZNS1_33reduce_by_key_impl_wrapped_configILNS1_25lookback_scan_determinismE0ES3_S9_NS6_18transform_iteratorI25linear_index_to_row_indexIiENS6_17counting_iteratorIiNS6_11use_defaultESG_SG_EESG_SG_EENS6_6detail15normal_iteratorINS6_10device_ptrIiEEEESN_SN_PmS8_NS6_8equal_toIiEEEE10hipError_tPvRmT2_T3_mT4_T5_T6_T7_T8_P12ihipStream_tbENKUlT_T0_E_clISt17integral_constantIbLb0EES18_EEDaS13_S14_EUlS13_E_NS1_11comp_targetILNS1_3genE9ELNS1_11target_archE1100ELNS1_3gpuE3ELNS1_3repE0EEENS1_30default_config_static_selectorELNS0_4arch9wavefront6targetE0EEEvT1_
	.p2align	8
	.type	_ZN7rocprim17ROCPRIM_400000_NS6detail17trampoline_kernelINS0_14default_configENS1_29reduce_by_key_config_selectorIiiN6thrust23THRUST_200600_302600_NS4plusIiEEEEZZNS1_33reduce_by_key_impl_wrapped_configILNS1_25lookback_scan_determinismE0ES3_S9_NS6_18transform_iteratorI25linear_index_to_row_indexIiENS6_17counting_iteratorIiNS6_11use_defaultESG_SG_EESG_SG_EENS6_6detail15normal_iteratorINS6_10device_ptrIiEEEESN_SN_PmS8_NS6_8equal_toIiEEEE10hipError_tPvRmT2_T3_mT4_T5_T6_T7_T8_P12ihipStream_tbENKUlT_T0_E_clISt17integral_constantIbLb0EES18_EEDaS13_S14_EUlS13_E_NS1_11comp_targetILNS1_3genE9ELNS1_11target_archE1100ELNS1_3gpuE3ELNS1_3repE0EEENS1_30default_config_static_selectorELNS0_4arch9wavefront6targetE0EEEvT1_,@function
_ZN7rocprim17ROCPRIM_400000_NS6detail17trampoline_kernelINS0_14default_configENS1_29reduce_by_key_config_selectorIiiN6thrust23THRUST_200600_302600_NS4plusIiEEEEZZNS1_33reduce_by_key_impl_wrapped_configILNS1_25lookback_scan_determinismE0ES3_S9_NS6_18transform_iteratorI25linear_index_to_row_indexIiENS6_17counting_iteratorIiNS6_11use_defaultESG_SG_EESG_SG_EENS6_6detail15normal_iteratorINS6_10device_ptrIiEEEESN_SN_PmS8_NS6_8equal_toIiEEEE10hipError_tPvRmT2_T3_mT4_T5_T6_T7_T8_P12ihipStream_tbENKUlT_T0_E_clISt17integral_constantIbLb0EES18_EEDaS13_S14_EUlS13_E_NS1_11comp_targetILNS1_3genE9ELNS1_11target_archE1100ELNS1_3gpuE3ELNS1_3repE0EEENS1_30default_config_static_selectorELNS0_4arch9wavefront6targetE0EEEvT1_: ; @_ZN7rocprim17ROCPRIM_400000_NS6detail17trampoline_kernelINS0_14default_configENS1_29reduce_by_key_config_selectorIiiN6thrust23THRUST_200600_302600_NS4plusIiEEEEZZNS1_33reduce_by_key_impl_wrapped_configILNS1_25lookback_scan_determinismE0ES3_S9_NS6_18transform_iteratorI25linear_index_to_row_indexIiENS6_17counting_iteratorIiNS6_11use_defaultESG_SG_EESG_SG_EENS6_6detail15normal_iteratorINS6_10device_ptrIiEEEESN_SN_PmS8_NS6_8equal_toIiEEEE10hipError_tPvRmT2_T3_mT4_T5_T6_T7_T8_P12ihipStream_tbENKUlT_T0_E_clISt17integral_constantIbLb0EES18_EEDaS13_S14_EUlS13_E_NS1_11comp_targetILNS1_3genE9ELNS1_11target_archE1100ELNS1_3gpuE3ELNS1_3repE0EEENS1_30default_config_static_selectorELNS0_4arch9wavefront6targetE0EEEvT1_
; %bb.0:
	.section	.rodata,"a",@progbits
	.p2align	6, 0x0
	.amdhsa_kernel _ZN7rocprim17ROCPRIM_400000_NS6detail17trampoline_kernelINS0_14default_configENS1_29reduce_by_key_config_selectorIiiN6thrust23THRUST_200600_302600_NS4plusIiEEEEZZNS1_33reduce_by_key_impl_wrapped_configILNS1_25lookback_scan_determinismE0ES3_S9_NS6_18transform_iteratorI25linear_index_to_row_indexIiENS6_17counting_iteratorIiNS6_11use_defaultESG_SG_EESG_SG_EENS6_6detail15normal_iteratorINS6_10device_ptrIiEEEESN_SN_PmS8_NS6_8equal_toIiEEEE10hipError_tPvRmT2_T3_mT4_T5_T6_T7_T8_P12ihipStream_tbENKUlT_T0_E_clISt17integral_constantIbLb0EES18_EEDaS13_S14_EUlS13_E_NS1_11comp_targetILNS1_3genE9ELNS1_11target_archE1100ELNS1_3gpuE3ELNS1_3repE0EEENS1_30default_config_static_selectorELNS0_4arch9wavefront6targetE0EEEvT1_
		.amdhsa_group_segment_fixed_size 0
		.amdhsa_private_segment_fixed_size 0
		.amdhsa_kernarg_size 120
		.amdhsa_user_sgpr_count 6
		.amdhsa_user_sgpr_private_segment_buffer 1
		.amdhsa_user_sgpr_dispatch_ptr 0
		.amdhsa_user_sgpr_queue_ptr 0
		.amdhsa_user_sgpr_kernarg_segment_ptr 1
		.amdhsa_user_sgpr_dispatch_id 0
		.amdhsa_user_sgpr_flat_scratch_init 0
		.amdhsa_user_sgpr_private_segment_size 0
		.amdhsa_wavefront_size32 1
		.amdhsa_uses_dynamic_stack 0
		.amdhsa_system_sgpr_private_segment_wavefront_offset 0
		.amdhsa_system_sgpr_workgroup_id_x 1
		.amdhsa_system_sgpr_workgroup_id_y 0
		.amdhsa_system_sgpr_workgroup_id_z 0
		.amdhsa_system_sgpr_workgroup_info 0
		.amdhsa_system_vgpr_workitem_id 0
		.amdhsa_next_free_vgpr 1
		.amdhsa_next_free_sgpr 1
		.amdhsa_reserve_vcc 0
		.amdhsa_reserve_flat_scratch 0
		.amdhsa_float_round_mode_32 0
		.amdhsa_float_round_mode_16_64 0
		.amdhsa_float_denorm_mode_32 3
		.amdhsa_float_denorm_mode_16_64 3
		.amdhsa_dx10_clamp 1
		.amdhsa_ieee_mode 1
		.amdhsa_fp16_overflow 0
		.amdhsa_workgroup_processor_mode 1
		.amdhsa_memory_ordered 1
		.amdhsa_forward_progress 1
		.amdhsa_shared_vgpr_count 0
		.amdhsa_exception_fp_ieee_invalid_op 0
		.amdhsa_exception_fp_denorm_src 0
		.amdhsa_exception_fp_ieee_div_zero 0
		.amdhsa_exception_fp_ieee_overflow 0
		.amdhsa_exception_fp_ieee_underflow 0
		.amdhsa_exception_fp_ieee_inexact 0
		.amdhsa_exception_int_div_zero 0
	.end_amdhsa_kernel
	.section	.text._ZN7rocprim17ROCPRIM_400000_NS6detail17trampoline_kernelINS0_14default_configENS1_29reduce_by_key_config_selectorIiiN6thrust23THRUST_200600_302600_NS4plusIiEEEEZZNS1_33reduce_by_key_impl_wrapped_configILNS1_25lookback_scan_determinismE0ES3_S9_NS6_18transform_iteratorI25linear_index_to_row_indexIiENS6_17counting_iteratorIiNS6_11use_defaultESG_SG_EESG_SG_EENS6_6detail15normal_iteratorINS6_10device_ptrIiEEEESN_SN_PmS8_NS6_8equal_toIiEEEE10hipError_tPvRmT2_T3_mT4_T5_T6_T7_T8_P12ihipStream_tbENKUlT_T0_E_clISt17integral_constantIbLb0EES18_EEDaS13_S14_EUlS13_E_NS1_11comp_targetILNS1_3genE9ELNS1_11target_archE1100ELNS1_3gpuE3ELNS1_3repE0EEENS1_30default_config_static_selectorELNS0_4arch9wavefront6targetE0EEEvT1_,"axG",@progbits,_ZN7rocprim17ROCPRIM_400000_NS6detail17trampoline_kernelINS0_14default_configENS1_29reduce_by_key_config_selectorIiiN6thrust23THRUST_200600_302600_NS4plusIiEEEEZZNS1_33reduce_by_key_impl_wrapped_configILNS1_25lookback_scan_determinismE0ES3_S9_NS6_18transform_iteratorI25linear_index_to_row_indexIiENS6_17counting_iteratorIiNS6_11use_defaultESG_SG_EESG_SG_EENS6_6detail15normal_iteratorINS6_10device_ptrIiEEEESN_SN_PmS8_NS6_8equal_toIiEEEE10hipError_tPvRmT2_T3_mT4_T5_T6_T7_T8_P12ihipStream_tbENKUlT_T0_E_clISt17integral_constantIbLb0EES18_EEDaS13_S14_EUlS13_E_NS1_11comp_targetILNS1_3genE9ELNS1_11target_archE1100ELNS1_3gpuE3ELNS1_3repE0EEENS1_30default_config_static_selectorELNS0_4arch9wavefront6targetE0EEEvT1_,comdat
.Lfunc_end18:
	.size	_ZN7rocprim17ROCPRIM_400000_NS6detail17trampoline_kernelINS0_14default_configENS1_29reduce_by_key_config_selectorIiiN6thrust23THRUST_200600_302600_NS4plusIiEEEEZZNS1_33reduce_by_key_impl_wrapped_configILNS1_25lookback_scan_determinismE0ES3_S9_NS6_18transform_iteratorI25linear_index_to_row_indexIiENS6_17counting_iteratorIiNS6_11use_defaultESG_SG_EESG_SG_EENS6_6detail15normal_iteratorINS6_10device_ptrIiEEEESN_SN_PmS8_NS6_8equal_toIiEEEE10hipError_tPvRmT2_T3_mT4_T5_T6_T7_T8_P12ihipStream_tbENKUlT_T0_E_clISt17integral_constantIbLb0EES18_EEDaS13_S14_EUlS13_E_NS1_11comp_targetILNS1_3genE9ELNS1_11target_archE1100ELNS1_3gpuE3ELNS1_3repE0EEENS1_30default_config_static_selectorELNS0_4arch9wavefront6targetE0EEEvT1_, .Lfunc_end18-_ZN7rocprim17ROCPRIM_400000_NS6detail17trampoline_kernelINS0_14default_configENS1_29reduce_by_key_config_selectorIiiN6thrust23THRUST_200600_302600_NS4plusIiEEEEZZNS1_33reduce_by_key_impl_wrapped_configILNS1_25lookback_scan_determinismE0ES3_S9_NS6_18transform_iteratorI25linear_index_to_row_indexIiENS6_17counting_iteratorIiNS6_11use_defaultESG_SG_EESG_SG_EENS6_6detail15normal_iteratorINS6_10device_ptrIiEEEESN_SN_PmS8_NS6_8equal_toIiEEEE10hipError_tPvRmT2_T3_mT4_T5_T6_T7_T8_P12ihipStream_tbENKUlT_T0_E_clISt17integral_constantIbLb0EES18_EEDaS13_S14_EUlS13_E_NS1_11comp_targetILNS1_3genE9ELNS1_11target_archE1100ELNS1_3gpuE3ELNS1_3repE0EEENS1_30default_config_static_selectorELNS0_4arch9wavefront6targetE0EEEvT1_
                                        ; -- End function
	.set _ZN7rocprim17ROCPRIM_400000_NS6detail17trampoline_kernelINS0_14default_configENS1_29reduce_by_key_config_selectorIiiN6thrust23THRUST_200600_302600_NS4plusIiEEEEZZNS1_33reduce_by_key_impl_wrapped_configILNS1_25lookback_scan_determinismE0ES3_S9_NS6_18transform_iteratorI25linear_index_to_row_indexIiENS6_17counting_iteratorIiNS6_11use_defaultESG_SG_EESG_SG_EENS6_6detail15normal_iteratorINS6_10device_ptrIiEEEESN_SN_PmS8_NS6_8equal_toIiEEEE10hipError_tPvRmT2_T3_mT4_T5_T6_T7_T8_P12ihipStream_tbENKUlT_T0_E_clISt17integral_constantIbLb0EES18_EEDaS13_S14_EUlS13_E_NS1_11comp_targetILNS1_3genE9ELNS1_11target_archE1100ELNS1_3gpuE3ELNS1_3repE0EEENS1_30default_config_static_selectorELNS0_4arch9wavefront6targetE0EEEvT1_.num_vgpr, 0
	.set _ZN7rocprim17ROCPRIM_400000_NS6detail17trampoline_kernelINS0_14default_configENS1_29reduce_by_key_config_selectorIiiN6thrust23THRUST_200600_302600_NS4plusIiEEEEZZNS1_33reduce_by_key_impl_wrapped_configILNS1_25lookback_scan_determinismE0ES3_S9_NS6_18transform_iteratorI25linear_index_to_row_indexIiENS6_17counting_iteratorIiNS6_11use_defaultESG_SG_EESG_SG_EENS6_6detail15normal_iteratorINS6_10device_ptrIiEEEESN_SN_PmS8_NS6_8equal_toIiEEEE10hipError_tPvRmT2_T3_mT4_T5_T6_T7_T8_P12ihipStream_tbENKUlT_T0_E_clISt17integral_constantIbLb0EES18_EEDaS13_S14_EUlS13_E_NS1_11comp_targetILNS1_3genE9ELNS1_11target_archE1100ELNS1_3gpuE3ELNS1_3repE0EEENS1_30default_config_static_selectorELNS0_4arch9wavefront6targetE0EEEvT1_.num_agpr, 0
	.set _ZN7rocprim17ROCPRIM_400000_NS6detail17trampoline_kernelINS0_14default_configENS1_29reduce_by_key_config_selectorIiiN6thrust23THRUST_200600_302600_NS4plusIiEEEEZZNS1_33reduce_by_key_impl_wrapped_configILNS1_25lookback_scan_determinismE0ES3_S9_NS6_18transform_iteratorI25linear_index_to_row_indexIiENS6_17counting_iteratorIiNS6_11use_defaultESG_SG_EESG_SG_EENS6_6detail15normal_iteratorINS6_10device_ptrIiEEEESN_SN_PmS8_NS6_8equal_toIiEEEE10hipError_tPvRmT2_T3_mT4_T5_T6_T7_T8_P12ihipStream_tbENKUlT_T0_E_clISt17integral_constantIbLb0EES18_EEDaS13_S14_EUlS13_E_NS1_11comp_targetILNS1_3genE9ELNS1_11target_archE1100ELNS1_3gpuE3ELNS1_3repE0EEENS1_30default_config_static_selectorELNS0_4arch9wavefront6targetE0EEEvT1_.numbered_sgpr, 0
	.set _ZN7rocprim17ROCPRIM_400000_NS6detail17trampoline_kernelINS0_14default_configENS1_29reduce_by_key_config_selectorIiiN6thrust23THRUST_200600_302600_NS4plusIiEEEEZZNS1_33reduce_by_key_impl_wrapped_configILNS1_25lookback_scan_determinismE0ES3_S9_NS6_18transform_iteratorI25linear_index_to_row_indexIiENS6_17counting_iteratorIiNS6_11use_defaultESG_SG_EESG_SG_EENS6_6detail15normal_iteratorINS6_10device_ptrIiEEEESN_SN_PmS8_NS6_8equal_toIiEEEE10hipError_tPvRmT2_T3_mT4_T5_T6_T7_T8_P12ihipStream_tbENKUlT_T0_E_clISt17integral_constantIbLb0EES18_EEDaS13_S14_EUlS13_E_NS1_11comp_targetILNS1_3genE9ELNS1_11target_archE1100ELNS1_3gpuE3ELNS1_3repE0EEENS1_30default_config_static_selectorELNS0_4arch9wavefront6targetE0EEEvT1_.num_named_barrier, 0
	.set _ZN7rocprim17ROCPRIM_400000_NS6detail17trampoline_kernelINS0_14default_configENS1_29reduce_by_key_config_selectorIiiN6thrust23THRUST_200600_302600_NS4plusIiEEEEZZNS1_33reduce_by_key_impl_wrapped_configILNS1_25lookback_scan_determinismE0ES3_S9_NS6_18transform_iteratorI25linear_index_to_row_indexIiENS6_17counting_iteratorIiNS6_11use_defaultESG_SG_EESG_SG_EENS6_6detail15normal_iteratorINS6_10device_ptrIiEEEESN_SN_PmS8_NS6_8equal_toIiEEEE10hipError_tPvRmT2_T3_mT4_T5_T6_T7_T8_P12ihipStream_tbENKUlT_T0_E_clISt17integral_constantIbLb0EES18_EEDaS13_S14_EUlS13_E_NS1_11comp_targetILNS1_3genE9ELNS1_11target_archE1100ELNS1_3gpuE3ELNS1_3repE0EEENS1_30default_config_static_selectorELNS0_4arch9wavefront6targetE0EEEvT1_.private_seg_size, 0
	.set _ZN7rocprim17ROCPRIM_400000_NS6detail17trampoline_kernelINS0_14default_configENS1_29reduce_by_key_config_selectorIiiN6thrust23THRUST_200600_302600_NS4plusIiEEEEZZNS1_33reduce_by_key_impl_wrapped_configILNS1_25lookback_scan_determinismE0ES3_S9_NS6_18transform_iteratorI25linear_index_to_row_indexIiENS6_17counting_iteratorIiNS6_11use_defaultESG_SG_EESG_SG_EENS6_6detail15normal_iteratorINS6_10device_ptrIiEEEESN_SN_PmS8_NS6_8equal_toIiEEEE10hipError_tPvRmT2_T3_mT4_T5_T6_T7_T8_P12ihipStream_tbENKUlT_T0_E_clISt17integral_constantIbLb0EES18_EEDaS13_S14_EUlS13_E_NS1_11comp_targetILNS1_3genE9ELNS1_11target_archE1100ELNS1_3gpuE3ELNS1_3repE0EEENS1_30default_config_static_selectorELNS0_4arch9wavefront6targetE0EEEvT1_.uses_vcc, 0
	.set _ZN7rocprim17ROCPRIM_400000_NS6detail17trampoline_kernelINS0_14default_configENS1_29reduce_by_key_config_selectorIiiN6thrust23THRUST_200600_302600_NS4plusIiEEEEZZNS1_33reduce_by_key_impl_wrapped_configILNS1_25lookback_scan_determinismE0ES3_S9_NS6_18transform_iteratorI25linear_index_to_row_indexIiENS6_17counting_iteratorIiNS6_11use_defaultESG_SG_EESG_SG_EENS6_6detail15normal_iteratorINS6_10device_ptrIiEEEESN_SN_PmS8_NS6_8equal_toIiEEEE10hipError_tPvRmT2_T3_mT4_T5_T6_T7_T8_P12ihipStream_tbENKUlT_T0_E_clISt17integral_constantIbLb0EES18_EEDaS13_S14_EUlS13_E_NS1_11comp_targetILNS1_3genE9ELNS1_11target_archE1100ELNS1_3gpuE3ELNS1_3repE0EEENS1_30default_config_static_selectorELNS0_4arch9wavefront6targetE0EEEvT1_.uses_flat_scratch, 0
	.set _ZN7rocprim17ROCPRIM_400000_NS6detail17trampoline_kernelINS0_14default_configENS1_29reduce_by_key_config_selectorIiiN6thrust23THRUST_200600_302600_NS4plusIiEEEEZZNS1_33reduce_by_key_impl_wrapped_configILNS1_25lookback_scan_determinismE0ES3_S9_NS6_18transform_iteratorI25linear_index_to_row_indexIiENS6_17counting_iteratorIiNS6_11use_defaultESG_SG_EESG_SG_EENS6_6detail15normal_iteratorINS6_10device_ptrIiEEEESN_SN_PmS8_NS6_8equal_toIiEEEE10hipError_tPvRmT2_T3_mT4_T5_T6_T7_T8_P12ihipStream_tbENKUlT_T0_E_clISt17integral_constantIbLb0EES18_EEDaS13_S14_EUlS13_E_NS1_11comp_targetILNS1_3genE9ELNS1_11target_archE1100ELNS1_3gpuE3ELNS1_3repE0EEENS1_30default_config_static_selectorELNS0_4arch9wavefront6targetE0EEEvT1_.has_dyn_sized_stack, 0
	.set _ZN7rocprim17ROCPRIM_400000_NS6detail17trampoline_kernelINS0_14default_configENS1_29reduce_by_key_config_selectorIiiN6thrust23THRUST_200600_302600_NS4plusIiEEEEZZNS1_33reduce_by_key_impl_wrapped_configILNS1_25lookback_scan_determinismE0ES3_S9_NS6_18transform_iteratorI25linear_index_to_row_indexIiENS6_17counting_iteratorIiNS6_11use_defaultESG_SG_EESG_SG_EENS6_6detail15normal_iteratorINS6_10device_ptrIiEEEESN_SN_PmS8_NS6_8equal_toIiEEEE10hipError_tPvRmT2_T3_mT4_T5_T6_T7_T8_P12ihipStream_tbENKUlT_T0_E_clISt17integral_constantIbLb0EES18_EEDaS13_S14_EUlS13_E_NS1_11comp_targetILNS1_3genE9ELNS1_11target_archE1100ELNS1_3gpuE3ELNS1_3repE0EEENS1_30default_config_static_selectorELNS0_4arch9wavefront6targetE0EEEvT1_.has_recursion, 0
	.set _ZN7rocprim17ROCPRIM_400000_NS6detail17trampoline_kernelINS0_14default_configENS1_29reduce_by_key_config_selectorIiiN6thrust23THRUST_200600_302600_NS4plusIiEEEEZZNS1_33reduce_by_key_impl_wrapped_configILNS1_25lookback_scan_determinismE0ES3_S9_NS6_18transform_iteratorI25linear_index_to_row_indexIiENS6_17counting_iteratorIiNS6_11use_defaultESG_SG_EESG_SG_EENS6_6detail15normal_iteratorINS6_10device_ptrIiEEEESN_SN_PmS8_NS6_8equal_toIiEEEE10hipError_tPvRmT2_T3_mT4_T5_T6_T7_T8_P12ihipStream_tbENKUlT_T0_E_clISt17integral_constantIbLb0EES18_EEDaS13_S14_EUlS13_E_NS1_11comp_targetILNS1_3genE9ELNS1_11target_archE1100ELNS1_3gpuE3ELNS1_3repE0EEENS1_30default_config_static_selectorELNS0_4arch9wavefront6targetE0EEEvT1_.has_indirect_call, 0
	.section	.AMDGPU.csdata,"",@progbits
; Kernel info:
; codeLenInByte = 0
; TotalNumSgprs: 0
; NumVgprs: 0
; ScratchSize: 0
; MemoryBound: 0
; FloatMode: 240
; IeeeMode: 1
; LDSByteSize: 0 bytes/workgroup (compile time only)
; SGPRBlocks: 0
; VGPRBlocks: 0
; NumSGPRsForWavesPerEU: 1
; NumVGPRsForWavesPerEU: 1
; Occupancy: 16
; WaveLimiterHint : 0
; COMPUTE_PGM_RSRC2:SCRATCH_EN: 0
; COMPUTE_PGM_RSRC2:USER_SGPR: 6
; COMPUTE_PGM_RSRC2:TRAP_HANDLER: 0
; COMPUTE_PGM_RSRC2:TGID_X_EN: 1
; COMPUTE_PGM_RSRC2:TGID_Y_EN: 0
; COMPUTE_PGM_RSRC2:TGID_Z_EN: 0
; COMPUTE_PGM_RSRC2:TIDIG_COMP_CNT: 0
	.section	.text._ZN7rocprim17ROCPRIM_400000_NS6detail17trampoline_kernelINS0_14default_configENS1_29reduce_by_key_config_selectorIiiN6thrust23THRUST_200600_302600_NS4plusIiEEEEZZNS1_33reduce_by_key_impl_wrapped_configILNS1_25lookback_scan_determinismE0ES3_S9_NS6_18transform_iteratorI25linear_index_to_row_indexIiENS6_17counting_iteratorIiNS6_11use_defaultESG_SG_EESG_SG_EENS6_6detail15normal_iteratorINS6_10device_ptrIiEEEESN_SN_PmS8_NS6_8equal_toIiEEEE10hipError_tPvRmT2_T3_mT4_T5_T6_T7_T8_P12ihipStream_tbENKUlT_T0_E_clISt17integral_constantIbLb0EES18_EEDaS13_S14_EUlS13_E_NS1_11comp_targetILNS1_3genE8ELNS1_11target_archE1030ELNS1_3gpuE2ELNS1_3repE0EEENS1_30default_config_static_selectorELNS0_4arch9wavefront6targetE0EEEvT1_,"axG",@progbits,_ZN7rocprim17ROCPRIM_400000_NS6detail17trampoline_kernelINS0_14default_configENS1_29reduce_by_key_config_selectorIiiN6thrust23THRUST_200600_302600_NS4plusIiEEEEZZNS1_33reduce_by_key_impl_wrapped_configILNS1_25lookback_scan_determinismE0ES3_S9_NS6_18transform_iteratorI25linear_index_to_row_indexIiENS6_17counting_iteratorIiNS6_11use_defaultESG_SG_EESG_SG_EENS6_6detail15normal_iteratorINS6_10device_ptrIiEEEESN_SN_PmS8_NS6_8equal_toIiEEEE10hipError_tPvRmT2_T3_mT4_T5_T6_T7_T8_P12ihipStream_tbENKUlT_T0_E_clISt17integral_constantIbLb0EES18_EEDaS13_S14_EUlS13_E_NS1_11comp_targetILNS1_3genE8ELNS1_11target_archE1030ELNS1_3gpuE2ELNS1_3repE0EEENS1_30default_config_static_selectorELNS0_4arch9wavefront6targetE0EEEvT1_,comdat
	.protected	_ZN7rocprim17ROCPRIM_400000_NS6detail17trampoline_kernelINS0_14default_configENS1_29reduce_by_key_config_selectorIiiN6thrust23THRUST_200600_302600_NS4plusIiEEEEZZNS1_33reduce_by_key_impl_wrapped_configILNS1_25lookback_scan_determinismE0ES3_S9_NS6_18transform_iteratorI25linear_index_to_row_indexIiENS6_17counting_iteratorIiNS6_11use_defaultESG_SG_EESG_SG_EENS6_6detail15normal_iteratorINS6_10device_ptrIiEEEESN_SN_PmS8_NS6_8equal_toIiEEEE10hipError_tPvRmT2_T3_mT4_T5_T6_T7_T8_P12ihipStream_tbENKUlT_T0_E_clISt17integral_constantIbLb0EES18_EEDaS13_S14_EUlS13_E_NS1_11comp_targetILNS1_3genE8ELNS1_11target_archE1030ELNS1_3gpuE2ELNS1_3repE0EEENS1_30default_config_static_selectorELNS0_4arch9wavefront6targetE0EEEvT1_ ; -- Begin function _ZN7rocprim17ROCPRIM_400000_NS6detail17trampoline_kernelINS0_14default_configENS1_29reduce_by_key_config_selectorIiiN6thrust23THRUST_200600_302600_NS4plusIiEEEEZZNS1_33reduce_by_key_impl_wrapped_configILNS1_25lookback_scan_determinismE0ES3_S9_NS6_18transform_iteratorI25linear_index_to_row_indexIiENS6_17counting_iteratorIiNS6_11use_defaultESG_SG_EESG_SG_EENS6_6detail15normal_iteratorINS6_10device_ptrIiEEEESN_SN_PmS8_NS6_8equal_toIiEEEE10hipError_tPvRmT2_T3_mT4_T5_T6_T7_T8_P12ihipStream_tbENKUlT_T0_E_clISt17integral_constantIbLb0EES18_EEDaS13_S14_EUlS13_E_NS1_11comp_targetILNS1_3genE8ELNS1_11target_archE1030ELNS1_3gpuE2ELNS1_3repE0EEENS1_30default_config_static_selectorELNS0_4arch9wavefront6targetE0EEEvT1_
	.globl	_ZN7rocprim17ROCPRIM_400000_NS6detail17trampoline_kernelINS0_14default_configENS1_29reduce_by_key_config_selectorIiiN6thrust23THRUST_200600_302600_NS4plusIiEEEEZZNS1_33reduce_by_key_impl_wrapped_configILNS1_25lookback_scan_determinismE0ES3_S9_NS6_18transform_iteratorI25linear_index_to_row_indexIiENS6_17counting_iteratorIiNS6_11use_defaultESG_SG_EESG_SG_EENS6_6detail15normal_iteratorINS6_10device_ptrIiEEEESN_SN_PmS8_NS6_8equal_toIiEEEE10hipError_tPvRmT2_T3_mT4_T5_T6_T7_T8_P12ihipStream_tbENKUlT_T0_E_clISt17integral_constantIbLb0EES18_EEDaS13_S14_EUlS13_E_NS1_11comp_targetILNS1_3genE8ELNS1_11target_archE1030ELNS1_3gpuE2ELNS1_3repE0EEENS1_30default_config_static_selectorELNS0_4arch9wavefront6targetE0EEEvT1_
	.p2align	8
	.type	_ZN7rocprim17ROCPRIM_400000_NS6detail17trampoline_kernelINS0_14default_configENS1_29reduce_by_key_config_selectorIiiN6thrust23THRUST_200600_302600_NS4plusIiEEEEZZNS1_33reduce_by_key_impl_wrapped_configILNS1_25lookback_scan_determinismE0ES3_S9_NS6_18transform_iteratorI25linear_index_to_row_indexIiENS6_17counting_iteratorIiNS6_11use_defaultESG_SG_EESG_SG_EENS6_6detail15normal_iteratorINS6_10device_ptrIiEEEESN_SN_PmS8_NS6_8equal_toIiEEEE10hipError_tPvRmT2_T3_mT4_T5_T6_T7_T8_P12ihipStream_tbENKUlT_T0_E_clISt17integral_constantIbLb0EES18_EEDaS13_S14_EUlS13_E_NS1_11comp_targetILNS1_3genE8ELNS1_11target_archE1030ELNS1_3gpuE2ELNS1_3repE0EEENS1_30default_config_static_selectorELNS0_4arch9wavefront6targetE0EEEvT1_,@function
_ZN7rocprim17ROCPRIM_400000_NS6detail17trampoline_kernelINS0_14default_configENS1_29reduce_by_key_config_selectorIiiN6thrust23THRUST_200600_302600_NS4plusIiEEEEZZNS1_33reduce_by_key_impl_wrapped_configILNS1_25lookback_scan_determinismE0ES3_S9_NS6_18transform_iteratorI25linear_index_to_row_indexIiENS6_17counting_iteratorIiNS6_11use_defaultESG_SG_EESG_SG_EENS6_6detail15normal_iteratorINS6_10device_ptrIiEEEESN_SN_PmS8_NS6_8equal_toIiEEEE10hipError_tPvRmT2_T3_mT4_T5_T6_T7_T8_P12ihipStream_tbENKUlT_T0_E_clISt17integral_constantIbLb0EES18_EEDaS13_S14_EUlS13_E_NS1_11comp_targetILNS1_3genE8ELNS1_11target_archE1030ELNS1_3gpuE2ELNS1_3repE0EEENS1_30default_config_static_selectorELNS0_4arch9wavefront6targetE0EEEvT1_: ; @_ZN7rocprim17ROCPRIM_400000_NS6detail17trampoline_kernelINS0_14default_configENS1_29reduce_by_key_config_selectorIiiN6thrust23THRUST_200600_302600_NS4plusIiEEEEZZNS1_33reduce_by_key_impl_wrapped_configILNS1_25lookback_scan_determinismE0ES3_S9_NS6_18transform_iteratorI25linear_index_to_row_indexIiENS6_17counting_iteratorIiNS6_11use_defaultESG_SG_EESG_SG_EENS6_6detail15normal_iteratorINS6_10device_ptrIiEEEESN_SN_PmS8_NS6_8equal_toIiEEEE10hipError_tPvRmT2_T3_mT4_T5_T6_T7_T8_P12ihipStream_tbENKUlT_T0_E_clISt17integral_constantIbLb0EES18_EEDaS13_S14_EUlS13_E_NS1_11comp_targetILNS1_3genE8ELNS1_11target_archE1030ELNS1_3gpuE2ELNS1_3repE0EEENS1_30default_config_static_selectorELNS0_4arch9wavefront6targetE0EEEvT1_
; %bb.0:
	s_clause 0x4
	s_load_dwordx8 s[20:27], s[4:5], 0x0
	s_load_dwordx8 s[36:43], s[4:5], 0x38
	s_load_dwordx4 s[28:31], s[4:5], 0x20
	s_load_dwordx2 s[34:35], s[4:5], 0x68
	s_load_dwordx4 s[44:47], s[4:5], 0x58
	s_mul_i32 s2, s6, 0xf00
	s_mov_b32 s3, 0
	s_waitcnt lgkmcnt(0)
	s_lshl_b64 s[0:1], s[22:23], 2
	s_mul_i32 s4, s40, s39
	s_mul_hi_u32 s5, s40, s38
	s_add_u32 s9, s24, s0
	s_mul_i32 s7, s41, s38
	s_addc_u32 s10, s25, s1
	s_add_i32 s4, s5, s4
	s_add_i32 s18, s2, s20
	s_lshl_b64 s[0:1], s[2:3], 2
	s_add_i32 s4, s4, s7
	s_add_i32 s18, s18, s22
	s_mul_i32 s8, s40, s38
	s_add_u32 s20, s9, s0
	s_addc_u32 s22, s10, s1
	s_add_u32 s16, s8, s6
	s_addc_u32 s17, s4, 0
	s_add_u32 s0, s42, -1
	s_addc_u32 s1, s43, -1
	s_mul_i32 s33, s0, 0xfffff100
	s_cmp_eq_u64 s[16:17], s[0:1]
	s_cselect_b32 s23, -1, 0
	s_cmp_lg_u64 s[16:17], s[0:1]
	s_cselect_b32 s19, -1, 0
	s_and_b32 vcc_lo, exec_lo, s23
	s_cbranch_vccnz .LBB19_2
; %bb.1:
	s_abs_i32 s4, s21
	v_add_nc_u32_e32 v2, s18, v0
	v_cvt_f32_u32_e32 v1, s4
	s_sub_i32 s0, 0, s4
	s_ashr_i32 s5, s21, 31
	v_lshlrev_b32_e32 v31, 2, v0
	v_sub_nc_u32_e32 v4, 0, v2
	v_rcp_iflag_f32_e32 v1, v1
	v_add_nc_u32_e32 v5, 0x100, v2
	v_sub_nc_u32_e32 v6, 0xffffff00, v2
	v_add_nc_u32_e32 v10, 0x300, v2
	v_sub_nc_u32_e32 v11, 0xfffffd00, v2
	v_add_nc_u32_e32 v14, 0x500, v2
	v_sub_nc_u32_e32 v15, 0xfffffb00, v2
	v_max_i32_e32 v4, v2, v4
	v_add_nc_u32_e32 v7, 0x200, v2
	v_sub_nc_u32_e32 v9, 0xfffffe00, v2
	v_mul_f32_e32 v1, 0x4f7ffffe, v1
	v_add_nc_u32_e32 v12, 0x400, v2
	v_sub_nc_u32_e32 v13, 0xfffffc00, v2
	v_ashrrev_i32_e32 v16, 31, v5
	v_max_i32_e32 v5, v5, v6
	v_cvt_u32_f32_e32 v1, v1
	v_ashrrev_i32_e32 v6, 31, v7
	v_max_i32_e32 v7, v7, v9
	v_ashrrev_i32_e32 v9, 31, v10
	v_ashrrev_i32_e32 v3, 31, v2
	v_mul_lo_u32 v8, s0, v1
	v_xor_b32_e32 v6, s5, v6
	v_mad_u32_u24 v37, v0, 56, v31
	v_xor_b32_e32 v9, s5, v9
	v_xor_b32_e32 v3, s5, v3
	v_mul_hi_u32 v8, v1, v8
	v_add_nc_u32_e32 v1, v1, v8
	v_max_i32_e32 v8, v10, v11
	v_max_i32_e32 v11, v14, v15
	;; [unrolled: 1-line block ×3, first 2 shown]
	v_xor_b32_e32 v13, s5, v16
	v_mul_hi_u32 v15, v4, v1
	v_mul_hi_u32 v16, v5, v1
	;; [unrolled: 1-line block ×6, first 2 shown]
	v_ashrrev_i32_e32 v14, 31, v14
	v_mul_lo_u32 v21, v15, s4
	v_mul_lo_u32 v23, v16, s4
	;; [unrolled: 1-line block ×3, first 2 shown]
	v_add_nc_u32_e32 v22, 1, v15
	v_mul_lo_u32 v25, v18, s4
	v_add_nc_u32_e32 v27, 1, v16
	v_add_nc_u32_e32 v28, 1, v17
	;; [unrolled: 1-line block ×3, first 2 shown]
	v_sub_nc_u32_e32 v4, v4, v21
	v_sub_nc_u32_e32 v5, v5, v23
	;; [unrolled: 1-line block ×3, first 2 shown]
	v_mul_lo_u32 v26, v19, s4
	v_sub_nc_u32_e32 v8, v8, v25
	v_cmp_le_u32_e32 vcc_lo, s4, v4
	v_subrev_nc_u32_e32 v21, s4, v4
	v_cmp_le_u32_e64 s0, s4, v5
	v_cmp_le_u32_e64 s1, s4, v7
	v_subrev_nc_u32_e32 v23, s4, v7
	v_cndmask_b32_e32 v15, v15, v22, vcc_lo
	v_subrev_nc_u32_e32 v22, s4, v5
	v_cndmask_b32_e32 v4, v4, v21, vcc_lo
	v_cndmask_b32_e64 v16, v16, v27, s0
	v_cndmask_b32_e64 v17, v17, v28, s1
	v_add_nc_u32_e32 v21, 1, v15
	v_cndmask_b32_e64 v5, v5, v22, s0
	v_cmp_le_u32_e32 vcc_lo, s4, v4
	v_cmp_le_u32_e64 s2, s4, v8
	v_subrev_nc_u32_e32 v24, s4, v8
	v_add_nc_u32_e32 v22, 1, v16
	v_cndmask_b32_e64 v7, v7, v23, s1
	v_cndmask_b32_e32 v4, v15, v21, vcc_lo
	v_cmp_le_u32_e32 vcc_lo, s4, v5
	v_cndmask_b32_e64 v18, v18, v29, s2
	v_add_nc_u32_e32 v23, 1, v17
	v_cndmask_b32_e64 v8, v8, v24, s2
	v_xor_b32_e32 v4, v4, v3
	v_cndmask_b32_e32 v5, v16, v22, vcc_lo
	v_cmp_le_u32_e32 vcc_lo, s4, v7
	v_add_nc_u32_e32 v15, 1, v18
	v_mul_lo_u32 v16, v20, s4
	v_sub_nc_u32_e32 v3, v4, v3
	v_xor_b32_e32 v5, v5, v13
	v_cndmask_b32_e32 v7, v17, v23, vcc_lo
	v_cmp_le_u32_e32 vcc_lo, s4, v8
	v_sub_nc_u32_e32 v10, v10, v26
	v_add_nc_u32_e32 v17, 1, v20
	v_sub_nc_u32_e32 v4, v5, v13
	v_add_nc_u32_e32 v13, 0x600, v2
	v_cndmask_b32_e32 v8, v18, v15, vcc_lo
	v_sub_nc_u32_e32 v15, 0xfffffa00, v2
	v_xor_b32_e32 v7, v7, v6
	v_cmp_le_u32_e32 vcc_lo, s4, v10
	v_sub_nc_u32_e32 v11, v11, v16
	v_add_nc_u32_e32 v18, 0x700, v2
	v_max_i32_e32 v15, v13, v15
	v_sub_nc_u32_e32 v5, v7, v6
	v_ashrrev_i32_e32 v6, 31, v12
	v_add_nc_u32_e32 v7, 1, v19
	v_subrev_nc_u32_e32 v12, s4, v10
	v_mul_hi_u32 v16, v15, v1
	v_ashrrev_i32_e32 v13, 31, v13
	v_xor_b32_e32 v6, s5, v6
	v_cndmask_b32_e32 v7, v19, v7, vcc_lo
	v_cndmask_b32_e32 v10, v10, v12, vcc_lo
	v_cmp_le_u32_e32 vcc_lo, s4, v11
	v_sub_nc_u32_e32 v19, 0xfffff900, v2
	v_xor_b32_e32 v13, s5, v13
	v_mul_lo_u32 v21, v16, s4
	v_add_nc_u32_e32 v12, 1, v7
	v_cndmask_b32_e32 v17, v20, v17, vcc_lo
	v_subrev_nc_u32_e32 v20, s4, v11
	v_max_i32_e32 v19, v18, v19
	v_cmp_le_u32_e64 s0, s4, v10
	v_xor_b32_e32 v14, s5, v14
	v_xor_b32_e32 v8, v8, v9
	v_cndmask_b32_e32 v10, v11, v20, vcc_lo
	v_add_nc_u32_e32 v11, 1, v17
	v_cndmask_b32_e64 v7, v7, v12, s0
	v_mul_hi_u32 v12, v19, v1
	v_sub_nc_u32_e32 v15, v15, v21
	v_cmp_le_u32_e32 vcc_lo, s4, v10
	v_sub_nc_u32_e32 v21, 0xfffff700, v2
	v_xor_b32_e32 v7, v7, v6
	v_sub_nc_u32_e32 v8, v8, v9
	v_sub_nc_u32_e32 v23, 0xfffff500, v2
	v_cndmask_b32_e32 v10, v17, v11, vcc_lo
	v_add_nc_u32_e32 v11, 1, v16
	v_subrev_nc_u32_e32 v17, s4, v15
	v_cmp_le_u32_e32 vcc_lo, s4, v15
	v_mul_lo_u32 v20, v12, s4
	v_xor_b32_e32 v10, v10, v14
	v_sub_nc_u32_e32 v6, v7, v6
	v_sub_nc_u32_e32 v24, 0xfffff400, v2
	v_cndmask_b32_e32 v11, v16, v11, vcc_lo
	v_cndmask_b32_e32 v15, v15, v17, vcc_lo
	v_sub_nc_u32_e32 v7, v10, v14
	v_add_nc_u32_e32 v14, 0xa00, v2
	v_sub_nc_u32_e32 v17, v19, v20
	v_add_nc_u32_e32 v16, 1, v11
	v_cmp_le_u32_e32 vcc_lo, s4, v15
	v_add_nc_u32_e32 v19, 0x800, v2
	v_sub_nc_u32_e32 v20, 0xfffff800, v2
	v_add_nc_u32_e32 v15, 1, v12
	v_cndmask_b32_e32 v11, v11, v16, vcc_lo
	v_ashrrev_i32_e32 v16, 31, v18
	v_subrev_nc_u32_e32 v18, s4, v17
	v_cmp_le_u32_e32 vcc_lo, s4, v17
	v_max_i32_e32 v20, v19, v20
	v_xor_b32_e32 v11, v11, v13
	v_xor_b32_e32 v16, s5, v16
	v_cndmask_b32_e32 v12, v12, v15, vcc_lo
	v_add_nc_u32_e32 v15, 0x900, v2
	v_cndmask_b32_e32 v17, v17, v18, vcc_lo
	v_mul_hi_u32 v22, v20, v1
	v_sub_nc_u32_e32 v9, v11, v13
	v_add_nc_u32_e32 v18, 1, v12
	v_max_i32_e32 v21, v15, v21
	v_cmp_le_u32_e32 vcc_lo, s4, v17
	v_ashrrev_i32_e32 v11, 31, v19
	v_ashrrev_i32_e32 v15, 31, v15
	v_mul_lo_u32 v17, v22, s4
	v_cndmask_b32_e32 v12, v12, v18, vcc_lo
	v_mul_hi_u32 v18, v21, v1
	v_add_nc_u32_e32 v19, 1, v22
	v_xor_b32_e32 v11, s5, v11
	v_xor_b32_e32 v15, s5, v15
	;; [unrolled: 1-line block ×3, first 2 shown]
	v_sub_nc_u32_e32 v12, v20, v17
	v_sub_nc_u32_e32 v17, 0xfffff600, v2
	v_mul_lo_u32 v13, v18, s4
	v_sub_nc_u32_e32 v10, v10, v16
	v_cmp_le_u32_e32 vcc_lo, s4, v12
	v_subrev_nc_u32_e32 v20, s4, v12
	v_max_i32_e32 v17, v14, v17
	v_ashrrev_i32_e32 v14, 31, v14
	v_sub_nc_u32_e32 v13, v21, v13
	v_cndmask_b32_e32 v19, v22, v19, vcc_lo
	v_cndmask_b32_e32 v12, v12, v20, vcc_lo
	v_add_nc_u32_e32 v21, 1, v18
	v_mul_hi_u32 v20, v17, v1
	v_cmp_le_u32_e32 vcc_lo, s4, v13
	v_add_nc_u32_e32 v22, 1, v19
	v_cmp_le_u32_e64 s0, s4, v12
	v_xor_b32_e32 v14, s5, v14
	v_cndmask_b32_e32 v18, v18, v21, vcc_lo
	v_subrev_nc_u32_e32 v21, s4, v13
	v_cndmask_b32_e64 v12, v19, v22, s0
	v_mul_lo_u32 v19, v20, s4
	v_add_nc_u32_e32 v22, 0xb00, v2
	v_cndmask_b32_e32 v13, v13, v21, vcc_lo
	v_add_nc_u32_e32 v21, 1, v18
	v_xor_b32_e32 v12, v12, v11
	v_ashrrev_i32_e32 v16, 31, v22
	v_cmp_le_u32_e32 vcc_lo, s4, v13
	v_sub_nc_u32_e32 v17, v17, v19
	v_add_nc_u32_e32 v19, 1, v20
	v_sub_nc_u32_e32 v11, v12, v11
	v_xor_b32_e32 v16, s5, v16
	v_cndmask_b32_e32 v13, v18, v21, vcc_lo
	v_max_i32_e32 v18, v22, v23
	v_subrev_nc_u32_e32 v21, s4, v17
	v_cmp_le_u32_e32 vcc_lo, s4, v17
	v_xor_b32_e32 v13, v13, v15
	v_mul_hi_u32 v23, v18, v1
	v_cndmask_b32_e32 v19, v20, v19, vcc_lo
	v_add_nc_u32_e32 v20, 0xc00, v2
	v_cndmask_b32_e32 v17, v17, v21, vcc_lo
	v_sub_nc_u32_e32 v13, v13, v15
	v_add_nc_u32_e32 v21, 1, v19
	v_max_i32_e32 v24, v20, v24
	v_cmp_le_u32_e32 vcc_lo, s4, v17
	v_mul_lo_u32 v25, v23, s4
	v_mul_hi_u32 v12, v24, v1
	v_cndmask_b32_e32 v17, v19, v21, vcc_lo
	v_add_nc_u32_e32 v19, 0xd00, v2
	v_sub_nc_u32_e32 v21, 0xfffff300, v2
	v_xor_b32_e32 v15, v17, v14
	v_sub_nc_u32_e32 v17, v18, v25
	v_mul_lo_u32 v22, v12, s4
	v_add_nc_u32_e32 v18, 1, v23
	v_max_i32_e32 v21, v19, v21
	v_ashrrev_i32_e32 v19, 31, v19
	v_cmp_le_u32_e32 vcc_lo, s4, v17
	v_subrev_nc_u32_e32 v25, s4, v17
	v_mul_hi_u32 v26, v21, v1
	v_sub_nc_u32_e32 v22, v24, v22
	v_cndmask_b32_e32 v18, v23, v18, vcc_lo
	v_add_nc_u32_e32 v23, 0xe00, v2
	v_sub_nc_u32_e32 v2, 0xfffff200, v2
	v_add_nc_u32_e32 v24, 1, v12
	v_cndmask_b32_e32 v17, v17, v25, vcc_lo
	v_cmp_le_u32_e32 vcc_lo, s4, v22
	v_add_nc_u32_e32 v25, 1, v18
	v_max_i32_e32 v2, v23, v2
	v_mul_lo_u32 v27, v26, s4
	v_cmp_le_u32_e64 s0, s4, v17
	v_cndmask_b32_e32 v12, v12, v24, vcc_lo
	v_subrev_nc_u32_e32 v24, s4, v22
	v_mul_hi_u32 v1, v2, v1
	v_ashrrev_i32_e32 v23, 31, v23
	v_cndmask_b32_e64 v17, v18, v25, s0
	v_ashrrev_i32_e32 v18, 31, v20
	v_cndmask_b32_e32 v20, v22, v24, vcc_lo
	v_add_nc_u32_e32 v22, 1, v12
	v_sub_nc_u32_e32 v21, v21, v27
	v_xor_b32_e32 v19, s5, v19
	v_mul_lo_u32 v24, v1, s4
	v_cmp_le_u32_e32 vcc_lo, s4, v20
	v_add_nc_u32_e32 v20, 1, v26
	v_xor_b32_e32 v18, s5, v18
	v_cndmask_b32_e32 v12, v12, v22, vcc_lo
	v_subrev_nc_u32_e32 v22, s4, v21
	v_sub_nc_u32_e32 v2, v2, v24
	v_cmp_le_u32_e32 vcc_lo, s4, v21
	v_add_nc_u32_e32 v24, 1, v1
	v_xor_b32_e32 v12, v12, v18
	v_subrev_nc_u32_e32 v25, s4, v2
	v_cndmask_b32_e32 v20, v26, v20, vcc_lo
	v_cmp_le_u32_e64 s0, s4, v2
	v_cndmask_b32_e32 v21, v21, v22, vcc_lo
	v_sub_nc_u32_e32 v12, v12, v18
	v_add_nc_u32_e32 v22, 1, v20
	v_cndmask_b32_e64 v1, v1, v24, s0
	v_cndmask_b32_e64 v2, v2, v25, s0
	v_cmp_le_u32_e32 vcc_lo, s4, v21
	v_xor_b32_e32 v21, s5, v23
	v_add_nc_u32_e32 v24, 1, v1
	v_cndmask_b32_e32 v20, v20, v22, vcc_lo
	v_cmp_le_u32_e32 vcc_lo, s4, v2
	v_sub_nc_u32_e32 v2, v15, v14
	v_xor_b32_e32 v14, v17, v16
	v_xor_b32_e32 v15, v20, v19
	v_cndmask_b32_e32 v1, v1, v24, vcc_lo
	v_sub_nc_u32_e32 v14, v14, v16
	v_sub_nc_u32_e32 v15, v15, v19
	v_xor_b32_e32 v1, v1, v21
	ds_write2st64_b32 v31, v3, v4 offset1:4
	ds_write2st64_b32 v31, v5, v8 offset0:8 offset1:12
	ds_write2st64_b32 v31, v6, v7 offset0:16 offset1:20
	;; [unrolled: 1-line block ×6, first 2 shown]
	v_sub_nc_u32_e32 v1, v1, v21
	ds_write_b32 v31, v1 offset:14336
	v_add_co_u32 v1, s0, s20, v31
	v_add_co_ci_u32_e64 v2, null, s22, 0, s0
	s_waitcnt lgkmcnt(0)
	v_add_co_u32 v3, vcc_lo, 0x800, v1
	v_add_co_ci_u32_e64 v4, null, 0, v2, vcc_lo
	v_add_co_u32 v5, vcc_lo, 0x1000, v1
	v_add_co_ci_u32_e64 v6, null, 0, v2, vcc_lo
	v_add_co_u32 v7, vcc_lo, 0x1800, v1
	s_barrier
	buffer_gl0_inv
	ds_read2_b32 v[29:30], v37 offset1:1
	ds_read2_b32 v[27:28], v37 offset0:2 offset1:3
	ds_read2_b32 v[25:26], v37 offset0:4 offset1:5
	;; [unrolled: 1-line block ×6, first 2 shown]
	ds_read_b32 v63, v37 offset:56
	s_waitcnt lgkmcnt(0)
	s_barrier
	buffer_gl0_inv
	v_add_co_ci_u32_e64 v8, null, 0, v2, vcc_lo
	s_clause 0x7
	flat_load_dword v9, v[1:2]
	flat_load_dword v10, v[1:2] offset:1024
	flat_load_dword v11, v[3:4]
	flat_load_dword v12, v[3:4] offset:1024
	;; [unrolled: 2-line block ×4, first 2 shown]
	v_add_co_u32 v3, vcc_lo, 0x2000, v1
	v_add_co_ci_u32_e64 v4, null, 0, v2, vcc_lo
	v_add_co_u32 v5, vcc_lo, 0x2800, v1
	v_add_co_ci_u32_e64 v6, null, 0, v2, vcc_lo
	;; [unrolled: 2-line block ×4, first 2 shown]
	s_clause 0x6
	flat_load_dword v32, v[3:4]
	flat_load_dword v3, v[3:4] offset:1024
	flat_load_dword v4, v[5:6]
	flat_load_dword v5, v[5:6] offset:1024
	;; [unrolled: 2-line block ×3, first 2 shown]
	flat_load_dword v1, v[1:2]
	s_waitcnt vmcnt(13) lgkmcnt(13)
	ds_write2st64_b32 v31, v9, v10 offset1:4
	s_waitcnt vmcnt(11) lgkmcnt(12)
	ds_write2st64_b32 v31, v11, v12 offset0:8 offset1:12
	s_waitcnt vmcnt(9) lgkmcnt(11)
	ds_write2st64_b32 v31, v13, v14 offset0:16 offset1:20
	;; [unrolled: 2-line block ×6, first 2 shown]
	s_waitcnt vmcnt(0) lgkmcnt(7)
	ds_write_b32 v31, v1 offset:14336
	s_waitcnt lgkmcnt(0)
	s_barrier
	buffer_gl0_inv
	ds_read2_b32 v[35:36], v37 offset1:1
	ds_read2_b32 v[33:34], v37 offset0:2 offset1:3
	ds_read2_b32 v[31:32], v37 offset0:4 offset1:5
	;; [unrolled: 1-line block ×6, first 2 shown]
	ds_read_b32 v79, v37 offset:56
	s_andn2_b32 vcc_lo, exec_lo, s3
	s_add_i32 s33, s33, s44
	s_cbranch_vccz .LBB19_3
	s_branch .LBB19_50
.LBB19_2:
                                        ; implicit-def: $vgpr79
                                        ; implicit-def: $vgpr10
                                        ; implicit-def: $vgpr12
                                        ; implicit-def: $vgpr14
                                        ; implicit-def: $vgpr16
                                        ; implicit-def: $vgpr32
                                        ; implicit-def: $vgpr34
                                        ; implicit-def: $vgpr36
                                        ; implicit-def: $vgpr29
                                        ; implicit-def: $vgpr27
                                        ; implicit-def: $vgpr25
                                        ; implicit-def: $vgpr23
                                        ; implicit-def: $vgpr21
                                        ; implicit-def: $vgpr19
                                        ; implicit-def: $vgpr17
                                        ; implicit-def: $vgpr63
	s_add_i32 s33, s33, s44
.LBB19_3:
	v_cmp_gt_u32_e32 vcc_lo, s33, v0
                                        ; implicit-def: $vgpr1
	s_and_saveexec_b32 s1, vcc_lo
	s_cbranch_execz .LBB19_5
; %bb.4:
	s_abs_i32 s2, s21
	v_add_nc_u32_e32 v3, s18, v0
	v_cvt_f32_u32_e32 v1, s2
	s_sub_i32 s0, 0, s2
	v_sub_nc_u32_e32 v4, 0, v3
	v_rcp_iflag_f32_e32 v1, v1
	v_max_i32_e32 v4, v3, v4
	v_xor_b32_e32 v3, s21, v3
	v_ashrrev_i32_e32 v3, 31, v3
	v_mul_f32_e32 v1, 0x4f7ffffe, v1
	v_cvt_u32_f32_e32 v1, v1
	v_mul_lo_u32 v2, s0, v1
	v_mul_hi_u32 v2, v1, v2
	v_add_nc_u32_e32 v1, v1, v2
	v_mul_hi_u32 v1, v4, v1
	v_mul_lo_u32 v2, v1, s2
	v_sub_nc_u32_e32 v2, v4, v2
	v_add_nc_u32_e32 v4, 1, v1
	v_subrev_nc_u32_e32 v5, s2, v2
	v_cmp_le_u32_e64 s0, s2, v2
	v_cndmask_b32_e64 v1, v1, v4, s0
	v_cndmask_b32_e64 v2, v2, v5, s0
	v_add_nc_u32_e32 v4, 1, v1
	v_cmp_le_u32_e64 s0, s2, v2
	v_cndmask_b32_e64 v1, v1, v4, s0
	v_xor_b32_e32 v1, v1, v3
	v_sub_nc_u32_e32 v1, v1, v3
.LBB19_5:
	s_or_b32 exec_lo, exec_lo, s1
	v_or_b32_e32 v3, 0x100, v0
                                        ; implicit-def: $vgpr2
	v_cmp_gt_u32_e64 s0, s33, v3
	s_and_saveexec_b32 s2, s0
	s_cbranch_execz .LBB19_7
; %bb.6:
	s_abs_i32 s3, s21
	v_add_nc_u32_e32 v3, s18, v3
	v_cvt_f32_u32_e32 v2, s3
	s_sub_i32 s1, 0, s3
	v_sub_nc_u32_e32 v5, 0, v3
	v_rcp_iflag_f32_e32 v2, v2
	v_max_i32_e32 v5, v3, v5
	v_xor_b32_e32 v3, s21, v3
	v_ashrrev_i32_e32 v3, 31, v3
	v_mul_f32_e32 v2, 0x4f7ffffe, v2
	v_cvt_u32_f32_e32 v2, v2
	v_mul_lo_u32 v4, s1, v2
	v_mul_hi_u32 v4, v2, v4
	v_add_nc_u32_e32 v2, v2, v4
	v_mul_hi_u32 v2, v5, v2
	v_mul_lo_u32 v4, v2, s3
	v_sub_nc_u32_e32 v4, v5, v4
	v_add_nc_u32_e32 v5, 1, v2
	v_subrev_nc_u32_e32 v6, s3, v4
	v_cmp_le_u32_e64 s1, s3, v4
	v_cndmask_b32_e64 v2, v2, v5, s1
	v_cndmask_b32_e64 v4, v4, v6, s1
	v_add_nc_u32_e32 v5, 1, v2
	v_cmp_le_u32_e64 s1, s3, v4
	v_cndmask_b32_e64 v2, v2, v5, s1
	v_xor_b32_e32 v2, v2, v3
	v_sub_nc_u32_e32 v2, v2, v3
.LBB19_7:
	s_or_b32 exec_lo, exec_lo, s2
	s_waitcnt lgkmcnt(5)
	v_or_b32_e32 v31, 0x200, v0
                                        ; implicit-def: $vgpr3
	v_cmp_gt_u32_e64 s1, s33, v31
	s_and_saveexec_b32 s3, s1
	s_cbranch_execz .LBB19_9
; %bb.8:
	s_abs_i32 s4, s21
	v_add_nc_u32_e32 v5, s18, v31
	v_cvt_f32_u32_e32 v3, s4
	s_sub_i32 s2, 0, s4
	v_sub_nc_u32_e32 v6, 0, v5
	v_rcp_iflag_f32_e32 v3, v3
	v_max_i32_e32 v6, v5, v6
	v_xor_b32_e32 v5, s21, v5
	v_ashrrev_i32_e32 v5, 31, v5
	v_mul_f32_e32 v3, 0x4f7ffffe, v3
	v_cvt_u32_f32_e32 v3, v3
	v_mul_lo_u32 v4, s2, v3
	v_mul_hi_u32 v4, v3, v4
	v_add_nc_u32_e32 v3, v3, v4
	v_mul_hi_u32 v3, v6, v3
	v_mul_lo_u32 v4, v3, s4
	v_sub_nc_u32_e32 v4, v6, v4
	v_add_nc_u32_e32 v6, 1, v3
	v_subrev_nc_u32_e32 v7, s4, v4
	v_cmp_le_u32_e64 s2, s4, v4
	v_cndmask_b32_e64 v3, v3, v6, s2
	v_cndmask_b32_e64 v4, v4, v7, s2
	v_add_nc_u32_e32 v6, 1, v3
	v_cmp_le_u32_e64 s2, s4, v4
	v_cndmask_b32_e64 v3, v3, v6, s2
	v_xor_b32_e32 v3, v3, v5
	v_sub_nc_u32_e32 v3, v3, v5
.LBB19_9:
	s_or_b32 exec_lo, exec_lo, s3
	v_or_b32_e32 v32, 0x300, v0
                                        ; implicit-def: $vgpr4
	v_cmp_gt_u32_e64 s2, s33, v32
	s_and_saveexec_b32 s4, s2
	s_cbranch_execz .LBB19_11
; %bb.10:
	s_abs_i32 s5, s21
	v_add_nc_u32_e32 v6, s18, v32
	v_cvt_f32_u32_e32 v4, s5
	s_sub_i32 s3, 0, s5
	v_sub_nc_u32_e32 v7, 0, v6
	v_rcp_iflag_f32_e32 v4, v4
	v_max_i32_e32 v7, v6, v7
	v_xor_b32_e32 v6, s21, v6
	v_ashrrev_i32_e32 v6, 31, v6
	v_mul_f32_e32 v4, 0x4f7ffffe, v4
	v_cvt_u32_f32_e32 v4, v4
	v_mul_lo_u32 v5, s3, v4
	v_mul_hi_u32 v5, v4, v5
	v_add_nc_u32_e32 v4, v4, v5
	v_mul_hi_u32 v4, v7, v4
	v_mul_lo_u32 v5, v4, s5
	v_sub_nc_u32_e32 v5, v7, v5
	v_add_nc_u32_e32 v7, 1, v4
	v_subrev_nc_u32_e32 v8, s5, v5
	v_cmp_le_u32_e64 s3, s5, v5
	v_cndmask_b32_e64 v4, v4, v7, s3
	v_cndmask_b32_e64 v5, v5, v8, s3
	v_add_nc_u32_e32 v7, 1, v4
	v_cmp_le_u32_e64 s3, s5, v5
	v_cndmask_b32_e64 v4, v4, v7, s3
	v_xor_b32_e32 v4, v4, v6
	v_sub_nc_u32_e32 v4, v4, v6
.LBB19_11:
	s_or_b32 exec_lo, exec_lo, s4
	v_or_b32_e32 v33, 0x400, v0
                                        ; implicit-def: $vgpr5
	v_cmp_gt_u32_e64 s3, s33, v33
	s_and_saveexec_b32 s5, s3
	s_cbranch_execz .LBB19_13
; %bb.12:
	s_abs_i32 s7, s21
	v_add_nc_u32_e32 v7, s18, v33
	v_cvt_f32_u32_e32 v5, s7
	s_sub_i32 s4, 0, s7
	v_sub_nc_u32_e32 v8, 0, v7
	v_rcp_iflag_f32_e32 v5, v5
	v_max_i32_e32 v8, v7, v8
	v_xor_b32_e32 v7, s21, v7
	v_ashrrev_i32_e32 v7, 31, v7
	v_mul_f32_e32 v5, 0x4f7ffffe, v5
	v_cvt_u32_f32_e32 v5, v5
	v_mul_lo_u32 v6, s4, v5
	v_mul_hi_u32 v6, v5, v6
	v_add_nc_u32_e32 v5, v5, v6
	v_mul_hi_u32 v5, v8, v5
	v_mul_lo_u32 v6, v5, s7
	v_sub_nc_u32_e32 v6, v8, v6
	v_add_nc_u32_e32 v8, 1, v5
	s_waitcnt lgkmcnt(1)
	v_subrev_nc_u32_e32 v9, s7, v6
	v_cmp_le_u32_e64 s4, s7, v6
	v_cndmask_b32_e64 v5, v5, v8, s4
	v_cndmask_b32_e64 v6, v6, v9, s4
	v_add_nc_u32_e32 v8, 1, v5
	v_cmp_le_u32_e64 s4, s7, v6
	v_cndmask_b32_e64 v5, v5, v8, s4
	v_xor_b32_e32 v5, v5, v7
	v_sub_nc_u32_e32 v5, v5, v7
.LBB19_13:
	s_or_b32 exec_lo, exec_lo, s5
	v_or_b32_e32 v34, 0x500, v0
                                        ; implicit-def: $vgpr6
	v_cmp_gt_u32_e64 s4, s33, v34
	s_and_saveexec_b32 s7, s4
	s_cbranch_execz .LBB19_15
; %bb.14:
	s_abs_i32 s8, s21
	v_add_nc_u32_e32 v8, s18, v34
	v_cvt_f32_u32_e32 v6, s8
	s_sub_i32 s5, 0, s8
	s_waitcnt lgkmcnt(1)
	v_sub_nc_u32_e32 v9, 0, v8
	v_rcp_iflag_f32_e32 v6, v6
	v_max_i32_e32 v9, v8, v9
	v_xor_b32_e32 v8, s21, v8
	v_ashrrev_i32_e32 v8, 31, v8
	v_mul_f32_e32 v6, 0x4f7ffffe, v6
	v_cvt_u32_f32_e32 v6, v6
	v_mul_lo_u32 v7, s5, v6
	v_mul_hi_u32 v7, v6, v7
	v_add_nc_u32_e32 v6, v6, v7
	v_mul_hi_u32 v6, v9, v6
	v_mul_lo_u32 v7, v6, s8
	v_sub_nc_u32_e32 v7, v9, v7
	v_add_nc_u32_e32 v9, 1, v6
	v_subrev_nc_u32_e32 v10, s8, v7
	v_cmp_le_u32_e64 s5, s8, v7
	v_cndmask_b32_e64 v6, v6, v9, s5
	v_cndmask_b32_e64 v7, v7, v10, s5
	v_add_nc_u32_e32 v9, 1, v6
	v_cmp_le_u32_e64 s5, s8, v7
	v_cndmask_b32_e64 v6, v6, v9, s5
	v_xor_b32_e32 v6, v6, v8
	v_sub_nc_u32_e32 v6, v6, v8
.LBB19_15:
	s_or_b32 exec_lo, exec_lo, s7
	v_or_b32_e32 v35, 0x600, v0
                                        ; implicit-def: $vgpr7
	v_cmp_gt_u32_e64 s5, s33, v35
	s_and_saveexec_b32 s8, s5
	s_cbranch_execz .LBB19_17
; %bb.16:
	s_abs_i32 s9, s21
	s_waitcnt lgkmcnt(1)
	v_add_nc_u32_e32 v9, s18, v35
	v_cvt_f32_u32_e32 v7, s9
	s_sub_i32 s7, 0, s9
	v_sub_nc_u32_e32 v10, 0, v9
	v_rcp_iflag_f32_e32 v7, v7
	v_max_i32_e32 v10, v9, v10
	v_xor_b32_e32 v9, s21, v9
	v_ashrrev_i32_e32 v9, 31, v9
	v_mul_f32_e32 v7, 0x4f7ffffe, v7
	v_cvt_u32_f32_e32 v7, v7
	v_mul_lo_u32 v8, s7, v7
	v_mul_hi_u32 v8, v7, v8
	v_add_nc_u32_e32 v7, v7, v8
	v_mul_hi_u32 v7, v10, v7
	v_mul_lo_u32 v8, v7, s9
	v_sub_nc_u32_e32 v8, v10, v8
	v_add_nc_u32_e32 v10, 1, v7
	v_subrev_nc_u32_e32 v11, s9, v8
	v_cmp_le_u32_e64 s7, s9, v8
	v_cndmask_b32_e64 v7, v7, v10, s7
	v_cndmask_b32_e64 v8, v8, v11, s7
	v_add_nc_u32_e32 v10, 1, v7
	v_cmp_le_u32_e64 s7, s9, v8
	v_cndmask_b32_e64 v7, v7, v10, s7
	v_xor_b32_e32 v7, v7, v9
	v_sub_nc_u32_e32 v7, v7, v9
.LBB19_17:
	s_or_b32 exec_lo, exec_lo, s8
	v_or_b32_e32 v36, 0x700, v0
                                        ; implicit-def: $vgpr8
	v_cmp_gt_u32_e64 s7, s33, v36
	s_and_saveexec_b32 s9, s7
	s_cbranch_execz .LBB19_19
; %bb.18:
	s_abs_i32 s10, s21
	s_waitcnt lgkmcnt(1)
	v_add_nc_u32_e32 v10, s18, v36
	v_cvt_f32_u32_e32 v8, s10
	s_sub_i32 s8, 0, s10
	v_sub_nc_u32_e32 v11, 0, v10
	v_rcp_iflag_f32_e32 v8, v8
	v_max_i32_e32 v11, v10, v11
	v_xor_b32_e32 v10, s21, v10
	v_ashrrev_i32_e32 v10, 31, v10
	v_mul_f32_e32 v8, 0x4f7ffffe, v8
	v_cvt_u32_f32_e32 v8, v8
	v_mul_lo_u32 v9, s8, v8
	v_mul_hi_u32 v9, v8, v9
	v_add_nc_u32_e32 v8, v8, v9
	v_mul_hi_u32 v8, v11, v8
	v_mul_lo_u32 v9, v8, s10
	v_sub_nc_u32_e32 v9, v11, v9
	v_add_nc_u32_e32 v11, 1, v8
	v_subrev_nc_u32_e32 v12, s10, v9
	v_cmp_le_u32_e64 s8, s10, v9
	v_cndmask_b32_e64 v8, v8, v11, s8
	v_cndmask_b32_e64 v9, v9, v12, s8
	v_add_nc_u32_e32 v11, 1, v8
	v_cmp_le_u32_e64 s8, s10, v9
	v_cndmask_b32_e64 v8, v8, v11, s8
	v_xor_b32_e32 v8, v8, v10
	v_sub_nc_u32_e32 v8, v8, v10
.LBB19_19:
	s_or_b32 exec_lo, exec_lo, s9
	v_or_b32_e32 v37, 0x800, v0
                                        ; implicit-def: $vgpr9
	v_cmp_gt_u32_e64 s8, s33, v37
	s_and_saveexec_b32 s10, s8
	s_cbranch_execz .LBB19_21
; %bb.20:
	s_abs_i32 s11, s21
	s_waitcnt lgkmcnt(2)
	v_add_nc_u32_e32 v11, s18, v37
	s_waitcnt lgkmcnt(1)
	v_cvt_f32_u32_e32 v9, s11
	s_sub_i32 s9, 0, s11
	v_sub_nc_u32_e32 v12, 0, v11
	v_rcp_iflag_f32_e32 v9, v9
	v_max_i32_e32 v12, v11, v12
	v_xor_b32_e32 v11, s21, v11
	v_ashrrev_i32_e32 v11, 31, v11
	v_mul_f32_e32 v9, 0x4f7ffffe, v9
	v_cvt_u32_f32_e32 v9, v9
	v_mul_lo_u32 v10, s9, v9
	v_mul_hi_u32 v10, v9, v10
	v_add_nc_u32_e32 v9, v9, v10
	v_mul_hi_u32 v9, v12, v9
	v_mul_lo_u32 v10, v9, s11
	v_sub_nc_u32_e32 v10, v12, v10
	v_add_nc_u32_e32 v12, 1, v9
	v_subrev_nc_u32_e32 v13, s11, v10
	v_cmp_le_u32_e64 s9, s11, v10
	v_cndmask_b32_e64 v9, v9, v12, s9
	v_cndmask_b32_e64 v10, v10, v13, s9
	v_add_nc_u32_e32 v12, 1, v9
	v_cmp_le_u32_e64 s9, s11, v10
	v_cndmask_b32_e64 v9, v9, v12, s9
	v_xor_b32_e32 v9, v9, v11
	v_sub_nc_u32_e32 v9, v9, v11
.LBB19_21:
	s_or_b32 exec_lo, exec_lo, s10
	v_or_b32_e32 v38, 0x900, v0
                                        ; implicit-def: $vgpr10
	v_cmp_gt_u32_e64 s9, s33, v38
	s_and_saveexec_b32 s11, s9
	s_cbranch_execz .LBB19_23
; %bb.22:
	s_abs_i32 s12, s21
	s_waitcnt lgkmcnt(2)
	v_add_nc_u32_e32 v12, s18, v38
	s_waitcnt lgkmcnt(1)
	v_cvt_f32_u32_e32 v10, s12
	s_sub_i32 s10, 0, s12
	v_sub_nc_u32_e32 v13, 0, v12
	v_rcp_iflag_f32_e32 v10, v10
	v_max_i32_e32 v13, v12, v13
	v_xor_b32_e32 v12, s21, v12
	v_ashrrev_i32_e32 v12, 31, v12
	v_mul_f32_e32 v10, 0x4f7ffffe, v10
	v_cvt_u32_f32_e32 v10, v10
	v_mul_lo_u32 v11, s10, v10
	v_mul_hi_u32 v11, v10, v11
	v_add_nc_u32_e32 v10, v10, v11
	v_mul_hi_u32 v10, v13, v10
	v_mul_lo_u32 v11, v10, s12
	v_sub_nc_u32_e32 v11, v13, v11
	v_add_nc_u32_e32 v13, 1, v10
	v_subrev_nc_u32_e32 v14, s12, v11
	v_cmp_le_u32_e64 s10, s12, v11
	v_cndmask_b32_e64 v10, v10, v13, s10
	v_cndmask_b32_e64 v11, v11, v14, s10
	v_add_nc_u32_e32 v13, 1, v10
	v_cmp_le_u32_e64 s10, s12, v11
	v_cndmask_b32_e64 v10, v10, v13, s10
	v_xor_b32_e32 v10, v10, v12
	v_sub_nc_u32_e32 v10, v10, v12
.LBB19_23:
	s_or_b32 exec_lo, exec_lo, s11
	v_or_b32_e32 v39, 0xa00, v0
                                        ; implicit-def: $vgpr11
	v_cmp_gt_u32_e64 s10, s33, v39
	s_and_saveexec_b32 s12, s10
	s_cbranch_execz .LBB19_25
; %bb.24:
	s_abs_i32 s13, s21
	s_waitcnt lgkmcnt(3)
	v_add_nc_u32_e32 v13, s18, v39
	s_waitcnt lgkmcnt(2)
	v_cvt_f32_u32_e32 v11, s13
	s_sub_i32 s11, 0, s13
	v_sub_nc_u32_e32 v14, 0, v13
	v_rcp_iflag_f32_e32 v11, v11
	v_max_i32_e32 v14, v13, v14
	v_xor_b32_e32 v13, s21, v13
	v_ashrrev_i32_e32 v13, 31, v13
	v_mul_f32_e32 v11, 0x4f7ffffe, v11
	v_cvt_u32_f32_e32 v11, v11
	v_mul_lo_u32 v12, s11, v11
	v_mul_hi_u32 v12, v11, v12
	v_add_nc_u32_e32 v11, v11, v12
	v_mul_hi_u32 v11, v14, v11
	v_mul_lo_u32 v12, v11, s13
	v_sub_nc_u32_e32 v12, v14, v12
	v_add_nc_u32_e32 v14, 1, v11
	v_subrev_nc_u32_e32 v15, s13, v12
	v_cmp_le_u32_e64 s11, s13, v12
	v_cndmask_b32_e64 v11, v11, v14, s11
	v_cndmask_b32_e64 v12, v12, v15, s11
	v_add_nc_u32_e32 v14, 1, v11
	v_cmp_le_u32_e64 s11, s13, v12
	v_cndmask_b32_e64 v11, v11, v14, s11
	v_xor_b32_e32 v11, v11, v13
	v_sub_nc_u32_e32 v11, v11, v13
.LBB19_25:
	s_or_b32 exec_lo, exec_lo, s12
	v_or_b32_e32 v40, 0xb00, v0
                                        ; implicit-def: $vgpr12
	v_cmp_gt_u32_e64 s11, s33, v40
	s_and_saveexec_b32 s13, s11
	s_cbranch_execz .LBB19_27
; %bb.26:
	s_abs_i32 s14, s21
	s_waitcnt lgkmcnt(3)
	v_add_nc_u32_e32 v14, s18, v40
	s_waitcnt lgkmcnt(2)
	v_cvt_f32_u32_e32 v12, s14
	s_sub_i32 s12, 0, s14
	v_sub_nc_u32_e32 v15, 0, v14
	v_rcp_iflag_f32_e32 v12, v12
	v_max_i32_e32 v15, v14, v15
	v_xor_b32_e32 v14, s21, v14
	v_ashrrev_i32_e32 v14, 31, v14
	v_mul_f32_e32 v12, 0x4f7ffffe, v12
	v_cvt_u32_f32_e32 v12, v12
	v_mul_lo_u32 v13, s12, v12
	v_mul_hi_u32 v13, v12, v13
	v_add_nc_u32_e32 v12, v12, v13
	v_mul_hi_u32 v12, v15, v12
	v_mul_lo_u32 v13, v12, s14
	v_sub_nc_u32_e32 v13, v15, v13
	v_add_nc_u32_e32 v15, 1, v12
	v_subrev_nc_u32_e32 v16, s14, v13
	v_cmp_le_u32_e64 s12, s14, v13
	v_cndmask_b32_e64 v12, v12, v15, s12
	v_cndmask_b32_e64 v13, v13, v16, s12
	v_add_nc_u32_e32 v15, 1, v12
	v_cmp_le_u32_e64 s12, s14, v13
	v_cndmask_b32_e64 v12, v12, v15, s12
	v_xor_b32_e32 v12, v12, v14
	v_sub_nc_u32_e32 v12, v12, v14
.LBB19_27:
	s_or_b32 exec_lo, exec_lo, s13
	v_or_b32_e32 v41, 0xc00, v0
                                        ; implicit-def: $vgpr13
	v_cmp_gt_u32_e64 s12, s33, v41
	s_and_saveexec_b32 s14, s12
	s_cbranch_execz .LBB19_29
; %bb.28:
	s_abs_i32 s15, s21
	s_waitcnt lgkmcnt(4)
	v_add_nc_u32_e32 v15, s18, v41
	s_waitcnt lgkmcnt(3)
	v_cvt_f32_u32_e32 v13, s15
	s_sub_i32 s13, 0, s15
	v_sub_nc_u32_e32 v16, 0, v15
	v_rcp_iflag_f32_e32 v13, v13
	v_max_i32_e32 v16, v15, v16
	v_xor_b32_e32 v15, s21, v15
	v_ashrrev_i32_e32 v15, 31, v15
	v_mul_f32_e32 v13, 0x4f7ffffe, v13
	v_cvt_u32_f32_e32 v13, v13
	v_mul_lo_u32 v14, s13, v13
	v_mul_hi_u32 v14, v13, v14
	v_add_nc_u32_e32 v13, v13, v14
	v_mul_hi_u32 v13, v16, v13
	v_mul_lo_u32 v14, v13, s15
	v_sub_nc_u32_e32 v14, v16, v14
	v_add_nc_u32_e32 v16, 1, v13
	v_subrev_nc_u32_e32 v17, s15, v14
	v_cmp_le_u32_e64 s13, s15, v14
	v_cndmask_b32_e64 v13, v13, v16, s13
	v_cndmask_b32_e64 v14, v14, v17, s13
	v_add_nc_u32_e32 v16, 1, v13
	v_cmp_le_u32_e64 s13, s15, v14
	v_cndmask_b32_e64 v13, v13, v16, s13
	v_xor_b32_e32 v13, v13, v15
	v_sub_nc_u32_e32 v13, v13, v15
.LBB19_29:
	s_or_b32 exec_lo, exec_lo, s14
	v_or_b32_e32 v42, 0xd00, v0
                                        ; implicit-def: $vgpr14
	v_cmp_gt_u32_e64 s13, s33, v42
	s_and_saveexec_b32 s15, s13
	s_cbranch_execz .LBB19_31
; %bb.30:
	s_abs_i32 s24, s21
	s_waitcnt lgkmcnt(4)
	v_add_nc_u32_e32 v16, s18, v42
	s_waitcnt lgkmcnt(3)
	v_cvt_f32_u32_e32 v14, s24
	s_sub_i32 s14, 0, s24
	v_sub_nc_u32_e32 v17, 0, v16
	v_rcp_iflag_f32_e32 v14, v14
	v_max_i32_e32 v17, v16, v17
	v_xor_b32_e32 v16, s21, v16
	v_ashrrev_i32_e32 v16, 31, v16
	v_mul_f32_e32 v14, 0x4f7ffffe, v14
	v_cvt_u32_f32_e32 v14, v14
	v_mul_lo_u32 v15, s14, v14
	v_mul_hi_u32 v15, v14, v15
	v_add_nc_u32_e32 v14, v14, v15
	v_mul_hi_u32 v14, v17, v14
	v_mul_lo_u32 v15, v14, s24
	v_sub_nc_u32_e32 v15, v17, v15
	v_add_nc_u32_e32 v17, 1, v14
	v_subrev_nc_u32_e32 v18, s24, v15
	v_cmp_le_u32_e64 s14, s24, v15
	v_cndmask_b32_e64 v14, v14, v17, s14
	v_cndmask_b32_e64 v15, v15, v18, s14
	v_add_nc_u32_e32 v17, 1, v14
	v_cmp_le_u32_e64 s14, s24, v15
	v_cndmask_b32_e64 v14, v14, v17, s14
	v_xor_b32_e32 v14, v14, v16
	v_sub_nc_u32_e32 v14, v14, v16
.LBB19_31:
	s_or_b32 exec_lo, exec_lo, s15
	v_or_b32_e32 v44, 0xe00, v0
                                        ; implicit-def: $vgpr15
	v_cmp_gt_u32_e64 s14, s33, v44
	s_and_saveexec_b32 s24, s14
	s_cbranch_execz .LBB19_33
; %bb.32:
	s_abs_i32 s25, s21
	v_add_nc_u32_e32 v17, s18, v44
	s_waitcnt lgkmcnt(4)
	v_cvt_f32_u32_e32 v15, s25
	s_sub_i32 s15, 0, s25
	v_sub_nc_u32_e32 v18, 0, v17
	v_rcp_iflag_f32_e32 v15, v15
	v_max_i32_e32 v18, v17, v18
	v_xor_b32_e32 v17, s21, v17
	v_ashrrev_i32_e32 v17, 31, v17
	v_mul_f32_e32 v15, 0x4f7ffffe, v15
	v_cvt_u32_f32_e32 v15, v15
	v_mul_lo_u32 v16, s15, v15
	v_mul_hi_u32 v16, v15, v16
	v_add_nc_u32_e32 v15, v15, v16
	v_mul_hi_u32 v15, v18, v15
	v_mul_lo_u32 v16, v15, s25
	v_sub_nc_u32_e32 v16, v18, v16
	v_add_nc_u32_e32 v18, 1, v15
	v_subrev_nc_u32_e32 v19, s25, v16
	v_cmp_le_u32_e64 s15, s25, v16
	v_cndmask_b32_e64 v15, v15, v18, s15
	v_cndmask_b32_e64 v16, v16, v19, s15
	v_add_nc_u32_e32 v18, 1, v15
	v_cmp_le_u32_e64 s15, s25, v16
	v_cndmask_b32_e64 v15, v15, v18, s15
	v_xor_b32_e32 v15, v15, v17
	v_sub_nc_u32_e32 v15, v15, v17
.LBB19_33:
	s_or_b32 exec_lo, exec_lo, s24
	v_lshlrev_b32_e32 v43, 2, v0
	ds_write2st64_b32 v43, v1, v2 offset1:4
	ds_write2st64_b32 v43, v3, v4 offset0:8 offset1:12
	ds_write2st64_b32 v43, v5, v6 offset0:16 offset1:20
	;; [unrolled: 1-line block ×3, first 2 shown]
	s_waitcnt lgkmcnt(5)
	ds_write2st64_b32 v43, v9, v10 offset0:32 offset1:36
	ds_write2st64_b32 v43, v11, v12 offset0:40 offset1:44
	;; [unrolled: 1-line block ×3, first 2 shown]
	v_mad_u32_u24 v2, v0, 56, v43
	ds_write_b32 v43, v15 offset:14336
	s_waitcnt lgkmcnt(0)
	s_barrier
	buffer_gl0_inv
	ds_read2_b32 v[29:30], v2 offset1:1
	ds_read2_b32 v[27:28], v2 offset0:2 offset1:3
	ds_read2_b32 v[25:26], v2 offset0:4 offset1:5
	;; [unrolled: 1-line block ×6, first 2 shown]
	ds_read_b32 v63, v2 offset:56
	v_mov_b32_e32 v1, 0
	s_waitcnt lgkmcnt(0)
	s_barrier
	buffer_gl0_inv
	v_mov_b32_e32 v2, v1
	v_mov_b32_e32 v3, v1
	;; [unrolled: 1-line block ×14, first 2 shown]
	s_and_saveexec_b32 s15, vcc_lo
	s_cbranch_execnz .LBB19_56
; %bb.34:
	s_or_b32 exec_lo, exec_lo, s15
	s_and_saveexec_b32 s15, s0
	s_cbranch_execnz .LBB19_57
.LBB19_35:
	s_or_b32 exec_lo, exec_lo, s15
	s_and_saveexec_b32 s0, s1
	s_cbranch_execnz .LBB19_58
.LBB19_36:
	s_or_b32 exec_lo, exec_lo, s0
	s_and_saveexec_b32 s0, s2
	s_cbranch_execnz .LBB19_59
.LBB19_37:
	s_or_b32 exec_lo, exec_lo, s0
	s_and_saveexec_b32 s0, s3
	s_cbranch_execnz .LBB19_60
.LBB19_38:
	s_or_b32 exec_lo, exec_lo, s0
	s_and_saveexec_b32 s0, s4
	s_cbranch_execnz .LBB19_61
.LBB19_39:
	s_or_b32 exec_lo, exec_lo, s0
	s_and_saveexec_b32 s0, s5
	s_cbranch_execnz .LBB19_62
.LBB19_40:
	s_or_b32 exec_lo, exec_lo, s0
	s_and_saveexec_b32 s0, s7
	s_cbranch_execnz .LBB19_63
.LBB19_41:
	s_or_b32 exec_lo, exec_lo, s0
	s_and_saveexec_b32 s0, s8
	s_cbranch_execnz .LBB19_64
.LBB19_42:
	s_or_b32 exec_lo, exec_lo, s0
	s_and_saveexec_b32 s0, s9
	s_cbranch_execnz .LBB19_65
.LBB19_43:
	s_or_b32 exec_lo, exec_lo, s0
	s_and_saveexec_b32 s0, s10
	s_cbranch_execnz .LBB19_66
.LBB19_44:
	s_or_b32 exec_lo, exec_lo, s0
	s_and_saveexec_b32 s0, s11
	s_cbranch_execnz .LBB19_67
.LBB19_45:
	s_or_b32 exec_lo, exec_lo, s0
	s_and_saveexec_b32 s0, s12
	s_cbranch_execnz .LBB19_68
.LBB19_46:
	s_or_b32 exec_lo, exec_lo, s0
	s_and_saveexec_b32 s0, s13
	s_cbranch_execnz .LBB19_69
.LBB19_47:
	s_or_b32 exec_lo, exec_lo, s0
	v_mul_u32_u24_e32 v16, 56, v0
	s_and_saveexec_b32 s0, s14
	s_cbranch_execz .LBB19_49
.LBB19_48:
	v_lshlrev_b32_e32 v15, 2, v44
	v_add_co_u32 v31, s1, s20, v15
	v_add_co_ci_u32_e64 v32, null, s22, 0, s1
	flat_load_dword v15, v[31:32]
.LBB19_49:
	s_or_b32 exec_lo, exec_lo, s0
	s_waitcnt vmcnt(0) lgkmcnt(0)
	ds_write2st64_b32 v43, v1, v2 offset1:4
	ds_write2st64_b32 v43, v3, v4 offset0:8 offset1:12
	ds_write2st64_b32 v43, v5, v6 offset0:16 offset1:20
	;; [unrolled: 1-line block ×6, first 2 shown]
	v_add_nc_u32_e32 v1, v43, v16
	ds_write_b32 v43, v15 offset:14336
	s_waitcnt lgkmcnt(0)
	s_barrier
	buffer_gl0_inv
	ds_read2_b32 v[35:36], v1 offset1:1
	ds_read2_b32 v[33:34], v1 offset0:2 offset1:3
	ds_read2_b32 v[31:32], v1 offset0:4 offset1:5
	;; [unrolled: 1-line block ×6, first 2 shown]
	ds_read_b32 v79, v1 offset:56
.LBB19_50:
	s_cmp_eq_u64 s[16:17], 0
	s_waitcnt lgkmcnt(0)
	s_cselect_b32 s40, -1, 0
	s_cmp_lg_u64 s[16:17], 0
	s_barrier
	s_cselect_b32 s20, -1, 0
	s_and_b32 vcc_lo, exec_lo, s19
	buffer_gl0_inv
	s_cbranch_vccz .LBB19_55
; %bb.51:
	s_and_b32 vcc_lo, exec_lo, s20
	s_cbranch_vccz .LBB19_70
; %bb.52:
	s_abs_i32 s10, s21
	s_add_i32 s9, s18, -1
	v_cvt_f32_u32_e32 v1, s10
	s_sub_i32 s7, 0, s10
	s_sub_i32 s8, 1, s18
	v_cmp_ne_u32_e64 s0, v17, v18
	s_max_i32 s13, s9, s8
	v_rcp_iflag_f32_e32 v1, v1
	s_xor_b32 s9, s9, s21
	v_cmp_ne_u32_e64 s1, v20, v17
	s_ashr_i32 s14, s9, 31
	v_cmp_ne_u32_e64 s2, v19, v20
	v_cmp_ne_u32_e64 s3, v22, v19
	;; [unrolled: 1-line block ×6, first 2 shown]
	v_mul_f32_e32 v2, 0x4f7ffffe, v1
	v_lshlrev_b32_e32 v1, 2, v0
	s_mov_b32 s41, -1
	s_mov_b32 s19, 0
	v_cmp_ne_u32_e32 vcc_lo, v18, v63
	v_cvt_u32_f32_e32 v2, v2
	ds_write_b32 v1, v63
	s_waitcnt lgkmcnt(0)
	s_barrier
	buffer_gl0_inv
	v_readfirstlane_b32 s11, v2
	s_mul_i32 s12, s7, s11
	v_cmp_ne_u32_e64 s7, v23, v24
	s_mul_hi_u32 s12, s11, s12
	s_add_i32 s11, s11, s12
	s_mul_hi_u32 s11, s13, s11
	s_mul_i32 s12, s11, s10
	s_sub_i32 s12, s13, s12
	s_add_i32 s13, s11, 1
	s_sub_i32 s15, s12, s10
	s_cmp_ge_u32 s12, s10
	s_cselect_b32 s11, s13, s11
	s_cselect_b32 s12, s15, s12
	s_add_i32 s13, s11, 1
	s_cmp_ge_u32 s12, s10
	v_cmp_ne_u32_e64 s10, v28, v25
	s_cselect_b32 s12, s13, s11
	v_cmp_ne_u32_e64 s11, v27, v28
	s_xor_b32 s13, s12, s14
	v_cmp_ne_u32_e64 s12, v30, v27
	s_sub_i32 s15, s13, s14
	v_cmp_ne_u32_e64 s13, v29, v30
	v_mov_b32_e32 v2, s15
	s_mov_b32 s15, exec_lo
	v_cmpx_ne_u32_e32 0, v0
; %bb.53:
	v_add_nc_u32_e32 v1, -4, v1
	ds_read_b32 v2, v1
; %bb.54:
	s_or_b32 exec_lo, exec_lo, s15
	v_cndmask_b32_e64 v72, 0, 1, vcc_lo
	v_cndmask_b32_e64 v64, 0, 1, s0
	v_cndmask_b32_e64 v65, 0, 1, s1
	;; [unrolled: 1-line block ×13, first 2 shown]
	s_waitcnt lgkmcnt(0)
	v_cmp_ne_u32_e64 s15, v2, v29
	s_and_b32 vcc_lo, exec_lo, s19
	s_cbranch_vccnz .LBB19_71
	s_branch .LBB19_74
.LBB19_55:
	s_mov_b32 s41, 0
                                        ; implicit-def: $sgpr15
                                        ; implicit-def: $vgpr72
                                        ; implicit-def: $vgpr64
                                        ; implicit-def: $vgpr65
                                        ; implicit-def: $vgpr66
                                        ; implicit-def: $vgpr67
                                        ; implicit-def: $vgpr68
                                        ; implicit-def: $vgpr69
                                        ; implicit-def: $vgpr70
                                        ; implicit-def: $vgpr71
                                        ; implicit-def: $vgpr73
                                        ; implicit-def: $vgpr74
                                        ; implicit-def: $vgpr75
                                        ; implicit-def: $vgpr76
                                        ; implicit-def: $vgpr77
	s_cbranch_execnz .LBB19_75
	s_branch .LBB19_83
.LBB19_56:
	v_add_co_u32 v2, s24, s20, v43
	v_add_co_ci_u32_e64 v3, null, s22, 0, s24
	v_mov_b32_e32 v4, v1
	v_mov_b32_e32 v5, v1
	;; [unrolled: 1-line block ×3, first 2 shown]
	flat_load_dword v2, v[2:3]
	v_mov_b32_e32 v3, v1
	v_mov_b32_e32 v7, v1
	;; [unrolled: 1-line block ×11, first 2 shown]
	s_waitcnt vmcnt(0) lgkmcnt(0)
	v_mov_b32_e32 v1, v2
	v_mov_b32_e32 v2, v3
	;; [unrolled: 1-line block ×16, first 2 shown]
	s_or_b32 exec_lo, exec_lo, s15
	s_and_saveexec_b32 s15, s0
	s_cbranch_execz .LBB19_35
.LBB19_57:
	v_add_co_u32 v45, s0, s20, v43
	v_add_co_ci_u32_e64 v46, null, s22, 0, s0
	flat_load_dword v2, v[45:46] offset:1024
	s_or_b32 exec_lo, exec_lo, s15
	s_and_saveexec_b32 s0, s1
	s_cbranch_execz .LBB19_36
.LBB19_58:
	v_lshlrev_b32_e32 v3, 2, v31
	v_add_co_u32 v45, s1, s20, v3
	v_add_co_ci_u32_e64 v46, null, s22, 0, s1
	flat_load_dword v3, v[45:46]
	s_or_b32 exec_lo, exec_lo, s0
	s_and_saveexec_b32 s0, s2
	s_cbranch_execz .LBB19_37
.LBB19_59:
	v_lshlrev_b32_e32 v4, 2, v32
	v_add_co_u32 v31, s1, s20, v4
	v_add_co_ci_u32_e64 v32, null, s22, 0, s1
	flat_load_dword v4, v[31:32]
	s_or_b32 exec_lo, exec_lo, s0
	s_and_saveexec_b32 s0, s3
	s_cbranch_execz .LBB19_38
.LBB19_60:
	v_lshlrev_b32_e32 v5, 2, v33
	v_add_co_u32 v31, s1, s20, v5
	v_add_co_ci_u32_e64 v32, null, s22, 0, s1
	flat_load_dword v5, v[31:32]
	s_or_b32 exec_lo, exec_lo, s0
	s_and_saveexec_b32 s0, s4
	s_cbranch_execz .LBB19_39
.LBB19_61:
	v_lshlrev_b32_e32 v6, 2, v34
	v_add_co_u32 v31, s1, s20, v6
	v_add_co_ci_u32_e64 v32, null, s22, 0, s1
	flat_load_dword v6, v[31:32]
	s_or_b32 exec_lo, exec_lo, s0
	s_and_saveexec_b32 s0, s5
	s_cbranch_execz .LBB19_40
.LBB19_62:
	v_lshlrev_b32_e32 v7, 2, v35
	v_add_co_u32 v31, s1, s20, v7
	v_add_co_ci_u32_e64 v32, null, s22, 0, s1
	flat_load_dword v7, v[31:32]
	s_or_b32 exec_lo, exec_lo, s0
	s_and_saveexec_b32 s0, s7
	s_cbranch_execz .LBB19_41
.LBB19_63:
	v_lshlrev_b32_e32 v8, 2, v36
	v_add_co_u32 v31, s1, s20, v8
	v_add_co_ci_u32_e64 v32, null, s22, 0, s1
	flat_load_dword v8, v[31:32]
	s_or_b32 exec_lo, exec_lo, s0
	s_and_saveexec_b32 s0, s8
	s_cbranch_execz .LBB19_42
.LBB19_64:
	v_lshlrev_b32_e32 v9, 2, v37
	v_add_co_u32 v31, s1, s20, v9
	v_add_co_ci_u32_e64 v32, null, s22, 0, s1
	flat_load_dword v9, v[31:32]
	s_or_b32 exec_lo, exec_lo, s0
	s_and_saveexec_b32 s0, s9
	s_cbranch_execz .LBB19_43
.LBB19_65:
	v_lshlrev_b32_e32 v10, 2, v38
	v_add_co_u32 v31, s1, s20, v10
	v_add_co_ci_u32_e64 v32, null, s22, 0, s1
	flat_load_dword v10, v[31:32]
	s_or_b32 exec_lo, exec_lo, s0
	s_and_saveexec_b32 s0, s10
	s_cbranch_execz .LBB19_44
.LBB19_66:
	v_lshlrev_b32_e32 v11, 2, v39
	v_add_co_u32 v31, s1, s20, v11
	v_add_co_ci_u32_e64 v32, null, s22, 0, s1
	flat_load_dword v11, v[31:32]
	s_or_b32 exec_lo, exec_lo, s0
	s_and_saveexec_b32 s0, s11
	s_cbranch_execz .LBB19_45
.LBB19_67:
	v_lshlrev_b32_e32 v12, 2, v40
	v_add_co_u32 v31, s1, s20, v12
	v_add_co_ci_u32_e64 v32, null, s22, 0, s1
	flat_load_dword v12, v[31:32]
	s_or_b32 exec_lo, exec_lo, s0
	s_and_saveexec_b32 s0, s12
	s_cbranch_execz .LBB19_46
.LBB19_68:
	v_lshlrev_b32_e32 v13, 2, v41
	v_add_co_u32 v31, s1, s20, v13
	v_add_co_ci_u32_e64 v32, null, s22, 0, s1
	flat_load_dword v13, v[31:32]
	s_or_b32 exec_lo, exec_lo, s0
	s_and_saveexec_b32 s0, s13
	s_cbranch_execz .LBB19_47
.LBB19_69:
	v_lshlrev_b32_e32 v14, 2, v42
	v_add_co_u32 v31, s1, s20, v14
	v_add_co_ci_u32_e64 v32, null, s22, 0, s1
	flat_load_dword v14, v[31:32]
	s_or_b32 exec_lo, exec_lo, s0
	v_mul_u32_u24_e32 v16, 56, v0
	s_and_saveexec_b32 s0, s14
	s_cbranch_execnz .LBB19_48
	s_branch .LBB19_49
.LBB19_70:
	s_mov_b32 s41, 0
                                        ; implicit-def: $sgpr15
                                        ; implicit-def: $vgpr72
                                        ; implicit-def: $vgpr64
                                        ; implicit-def: $vgpr65
                                        ; implicit-def: $vgpr66
                                        ; implicit-def: $vgpr67
                                        ; implicit-def: $vgpr68
                                        ; implicit-def: $vgpr69
                                        ; implicit-def: $vgpr70
                                        ; implicit-def: $vgpr71
                                        ; implicit-def: $vgpr73
                                        ; implicit-def: $vgpr74
                                        ; implicit-def: $vgpr75
                                        ; implicit-def: $vgpr76
                                        ; implicit-def: $vgpr77
	s_cbranch_execz .LBB19_74
.LBB19_71:
	v_lshlrev_b32_e32 v1, 2, v0
	v_cmp_ne_u32_e64 s0, v17, v18
	v_cmp_ne_u32_e64 s1, v20, v17
	v_cmp_ne_u32_e64 s2, v19, v20
	v_cmp_ne_u32_e64 s3, v22, v19
	v_cmp_ne_u32_e64 s4, v21, v22
	v_cmp_ne_u32_e64 s5, v24, v21
	v_cmp_ne_u32_e64 s7, v23, v24
	v_cmp_ne_u32_e64 s8, v26, v23
	v_cmp_ne_u32_e64 s9, v25, v26
	v_cmp_ne_u32_e64 s10, v28, v25
	v_cmp_ne_u32_e64 s11, v27, v28
	v_cmp_ne_u32_e64 s12, v30, v27
	v_cmp_ne_u32_e64 s13, v29, v30
	v_cmp_ne_u32_e64 s14, 0, v0
	v_cmp_ne_u32_e32 vcc_lo, v18, v63
	ds_write_b32 v1, v63
	s_waitcnt lgkmcnt(0)
	s_barrier
	buffer_gl0_inv
                                        ; implicit-def: $sgpr15
	s_and_saveexec_b32 s19, s14
	s_xor_b32 s14, exec_lo, s19
	s_cbranch_execz .LBB19_73
; %bb.72:
	v_add_nc_u32_e32 v1, -4, v1
	s_or_b32 s41, s41, exec_lo
	ds_read_b32 v1, v1
	s_waitcnt lgkmcnt(0)
	v_cmp_ne_u32_e64 s15, v1, v29
.LBB19_73:
	s_or_b32 exec_lo, exec_lo, s14
	v_cndmask_b32_e64 v72, 0, 1, vcc_lo
	v_cndmask_b32_e64 v64, 0, 1, s0
	v_cndmask_b32_e64 v65, 0, 1, s1
	;; [unrolled: 1-line block ×13, first 2 shown]
.LBB19_74:
	s_branch .LBB19_83
.LBB19_75:
	s_mul_hi_u32 s0, s16, 0xfffff100
	s_mul_i32 s1, s17, 0xfffff100
	s_sub_i32 s0, s0, s16
	s_mul_i32 s2, s16, 0xfffff100
	s_add_i32 s0, s0, s1
	s_add_u32 s24, s2, s44
	s_addc_u32 s25, s0, s45
	v_cmp_ne_u32_e64 s10, v18, v63
	v_cmp_ne_u32_e64 s11, v17, v18
	;; [unrolled: 1-line block ×14, first 2 shown]
	v_mad_u32_u24 v1, v0, 15, 14
	v_mad_u32_u24 v55, v0, 15, 13
	;; [unrolled: 1-line block ×14, first 2 shown]
	v_cmp_ne_u32_e64 s7, 0, v0
	s_and_b32 vcc_lo, exec_lo, s20
	s_cbranch_vccz .LBB19_79
; %bb.76:
	s_abs_i32 s22, s21
	s_add_i32 s16, s18, -1
	v_cvt_f32_u32_e32 v2, s22
	s_sub_i32 s17, 1, s18
	s_xor_b32 s18, s16, s21
	s_max_i32 s21, s16, s17
	s_ashr_i32 s44, s18, 31
	v_rcp_iflag_f32_e32 v4, v2
	s_sub_i32 s16, 0, s22
	v_mov_b32_e32 v2, 0
	v_lshlrev_b32_e32 v58, 2, v0
	v_mul_u32_u24_e32 v57, 15, v0
	s_mov_b32 s41, -1
	s_mov_b32 s42, 0
	v_cmp_gt_u64_e32 vcc_lo, s[24:25], v[1:2]
	v_mov_b32_e32 v56, v2
	v_mov_b32_e32 v54, v2
	v_mul_f32_e32 v4, 0x4f7ffffe, v4
	v_mov_b32_e32 v52, v2
	v_mov_b32_e32 v50, v2
	;; [unrolled: 1-line block ×4, first 2 shown]
	v_cvt_u32_f32_e32 v4, v4
	v_mov_b32_e32 v42, v2
	v_mov_b32_e32 v48, v2
	;; [unrolled: 1-line block ×4, first 2 shown]
	v_readfirstlane_b32 s18, v4
	v_mov_b32_e32 v8, v2
	v_mov_b32_e32 v6, v2
	;; [unrolled: 1-line block ×3, first 2 shown]
	v_cmp_gt_u64_e64 s20, s[24:25], v[47:48]
	s_mul_i32 s17, s16, s18
	v_cmp_gt_u64_e64 s16, s[24:25], v[55:56]
	s_mul_hi_u32 s19, s18, s17
	v_cmp_gt_u64_e64 s17, s[24:25], v[53:54]
	s_add_i32 s19, s18, s19
	v_cmp_gt_u64_e64 s18, s[24:25], v[51:52]
	s_mul_hi_u32 s43, s21, s19
	v_cmp_gt_u64_e64 s19, s[24:25], v[49:50]
	s_mul_i32 s45, s43, s22
	s_add_i32 s48, s43, 1
	s_sub_i32 s45, s21, s45
	v_cmp_gt_u64_e64 s21, s[24:25], v[45:46]
	s_sub_i32 s49, s45, s22
	s_cmp_ge_u32 s45, s22
	ds_write_b32 v58, v63
	s_cselect_b32 s43, s48, s43
	s_cselect_b32 s45, s49, s45
	s_add_i32 s48, s43, 1
	s_cmp_ge_u32 s45, s22
	v_cmp_gt_u64_e64 s22, s[24:25], v[43:44]
	s_cselect_b32 s45, s48, s43
	s_and_b32 s43, vcc_lo, s10
	v_cmp_gt_u64_e32 vcc_lo, s[24:25], v[41:42]
	s_xor_b32 s10, s45, s44
	s_and_b32 s16, s16, s11
	s_and_b32 s12, s17, s12
	;; [unrolled: 1-line block ×5, first 2 shown]
	s_sub_i32 s19, s10, s44
	s_and_b32 s18, s22, s8
	v_cmp_gt_u64_e64 s8, s[24:25], v[39:40]
	v_cmp_gt_u64_e64 s9, s[24:25], v[37:38]
	v_cmp_gt_u64_e64 s10, s[24:25], v[7:8]
	v_cmp_gt_u64_e64 s11, s[24:25], v[5:6]
	s_and_b32 s5, vcc_lo, s5
	v_cmp_gt_u64_e32 vcc_lo, s[24:25], v[3:4]
	v_mov_b32_e32 v4, s19
	s_and_b32 s15, s20, s15
	s_and_b32 s8, s8, s1
	;; [unrolled: 1-line block ×5, first 2 shown]
	s_and_b32 s4, vcc_lo, s0
	s_waitcnt lgkmcnt(0)
	s_barrier
	buffer_gl0_inv
	s_and_saveexec_b32 s0, s7
; %bb.77:
	v_add_nc_u32_e32 v4, -4, v58
	ds_read_b32 v4, v4
; %bb.78:
	s_or_b32 exec_lo, exec_lo, s0
	v_mov_b32_e32 v58, v2
	s_waitcnt lgkmcnt(0)
	v_cmp_ne_u32_e64 s0, v4, v29
	v_cndmask_b32_e64 v72, 0, 1, s43
	v_cndmask_b32_e64 v64, 0, 1, s16
	;; [unrolled: 1-line block ×3, first 2 shown]
	v_cmp_gt_u64_e32 vcc_lo, s[24:25], v[57:58]
	v_cndmask_b32_e64 v66, 0, 1, s13
	v_cndmask_b32_e64 v67, 0, 1, s14
	;; [unrolled: 1-line block ×11, first 2 shown]
	s_and_b32 s15, vcc_lo, s0
	s_and_b32 vcc_lo, exec_lo, s42
	s_cbranch_vccnz .LBB19_80
	s_branch .LBB19_83
.LBB19_79:
                                        ; implicit-def: $sgpr15
                                        ; implicit-def: $vgpr72
                                        ; implicit-def: $vgpr64
                                        ; implicit-def: $vgpr65
                                        ; implicit-def: $vgpr66
                                        ; implicit-def: $vgpr67
                                        ; implicit-def: $vgpr68
                                        ; implicit-def: $vgpr69
                                        ; implicit-def: $vgpr70
                                        ; implicit-def: $vgpr71
                                        ; implicit-def: $vgpr73
                                        ; implicit-def: $vgpr74
                                        ; implicit-def: $vgpr75
                                        ; implicit-def: $vgpr76
                                        ; implicit-def: $vgpr77
	s_cbranch_execz .LBB19_83
.LBB19_80:
	v_mov_b32_e32 v2, 0
	v_cmp_ne_u32_e64 s0, v17, v18
	v_cmp_ne_u32_e32 vcc_lo, v18, v63
	v_cmp_ne_u32_e64 s1, v20, v17
	v_cmp_ne_u32_e64 s7, v21, v22
	v_mov_b32_e32 v56, v2
	v_cmp_gt_u64_e64 s2, s[24:25], v[1:2]
	v_mov_b32_e32 v54, v2
	v_mov_b32_e32 v52, v2
	;; [unrolled: 1-line block ×3, first 2 shown]
	v_cmp_gt_u64_e64 s3, s[24:25], v[55:56]
	v_mov_b32_e32 v50, v2
	v_cmp_gt_u64_e64 s4, s[24:25], v[53:54]
	v_cmp_gt_u64_e64 s5, s[24:25], v[51:52]
	s_and_b32 s8, s2, vcc_lo
	v_cmp_ne_u32_e32 vcc_lo, v19, v20
	s_and_b32 s9, s3, s0
	v_cmp_gt_u64_e64 s3, s[24:25], v[47:48]
	v_cmp_gt_u64_e64 s0, s[24:25], v[49:50]
	v_mov_b32_e32 v46, v2
	v_mov_b32_e32 v44, v2
	;; [unrolled: 1-line block ×4, first 2 shown]
	v_cmp_ne_u32_e64 s2, v22, v19
	s_and_b32 s10, s4, s1
	s_and_b32 s11, s5, vcc_lo
	s_and_b32 s13, s3, s7
	v_cmp_gt_u64_e32 vcc_lo, s[24:25], v[45:46]
	v_cmp_gt_u64_e64 s1, s[24:25], v[43:44]
	v_cmp_gt_u64_e64 s3, s[24:25], v[41:42]
	;; [unrolled: 1-line block ×3, first 2 shown]
	s_and_b32 s12, s0, s2
	v_cmp_ne_u32_e64 s0, v24, v21
	v_cmp_ne_u32_e64 s2, v23, v24
	;; [unrolled: 1-line block ×4, first 2 shown]
	v_mov_b32_e32 v38, v2
	v_mov_b32_e32 v8, v2
	;; [unrolled: 1-line block ×4, first 2 shown]
	s_and_b32 s14, vcc_lo, s0
	s_and_b32 s16, s1, s2
	s_and_b32 s17, s3, s4
	;; [unrolled: 1-line block ×3, first 2 shown]
	v_cmp_gt_u64_e32 vcc_lo, s[24:25], v[37:38]
	v_cmp_gt_u64_e64 s1, s[24:25], v[7:8]
	v_cmp_gt_u64_e64 s3, s[24:25], v[5:6]
	;; [unrolled: 1-line block ×3, first 2 shown]
	v_cmp_ne_u32_e64 s0, v28, v25
	v_cmp_ne_u32_e64 s2, v27, v28
	;; [unrolled: 1-line block ×4, first 2 shown]
	v_lshlrev_b32_e32 v57, 2, v0
	s_and_b32 s19, vcc_lo, s0
	s_and_b32 s1, s1, s2
	s_and_b32 s2, s3, s4
	;; [unrolled: 1-line block ×3, first 2 shown]
	s_mov_b32 s4, exec_lo
	ds_write_b32 v57, v63
	s_waitcnt lgkmcnt(0)
	s_barrier
	buffer_gl0_inv
                                        ; implicit-def: $sgpr15
	v_cmpx_ne_u32_e32 0, v0
	s_cbranch_execz .LBB19_82
; %bb.81:
	v_add_nc_u32_e32 v1, -4, v57
	s_or_b32 s41, s41, exec_lo
	ds_read_b32 v3, v1
	v_mul_u32_u24_e32 v1, 15, v0
	v_cmp_gt_u64_e32 vcc_lo, s[24:25], v[1:2]
	s_waitcnt lgkmcnt(0)
	v_cmp_ne_u32_e64 s0, v3, v29
	s_and_b32 s15, vcc_lo, s0
.LBB19_82:
	s_or_b32 exec_lo, exec_lo, s4
	v_cndmask_b32_e64 v72, 0, 1, s8
	v_cndmask_b32_e64 v64, 0, 1, s9
	;; [unrolled: 1-line block ×14, first 2 shown]
.LBB19_83:
	v_mov_b32_e32 v78, 1
	s_and_saveexec_b32 s0, s41
; %bb.84:
	v_cndmask_b32_e64 v78, 0, 1, s15
; %bb.85:
	s_or_b32 exec_lo, exec_lo, s0
	v_add3_u32 v1, v77, v78, v76
	v_cmp_eq_u32_e64 s13, 0, v77
	v_cmp_eq_u32_e64 s12, 0, v76
	;; [unrolled: 1-line block ×4, first 2 shown]
	v_add3_u32 v84, v1, v75, v74
	v_cmp_eq_u32_e64 s9, 0, v73
	v_cmp_eq_u32_e64 s8, 0, v71
	;; [unrolled: 1-line block ×9, first 2 shown]
	v_mbcnt_lo_u32_b32 v81, -1, 0
	v_lshrrev_b32_e32 v82, 5, v0
	v_or_b32_e32 v83, 31, v0
	s_cmp_eq_u64 s[38:39], 0
	v_cmp_eq_u32_e32 vcc_lo, 0, v72
	s_cselect_b32 s17, -1, 0
	s_cmp_lg_u32 s6, 0
	s_cbranch_scc0 .LBB19_107
; %bb.86:
	v_cndmask_b32_e64 v1, 0, v35, s13
	v_add3_u32 v2, v84, v73, v71
	v_and_b32_e32 v4, 15, v81
	v_add_nc_u32_e32 v1, v1, v36
	v_add3_u32 v2, v2, v70, v69
	v_cndmask_b32_e64 v1, 0, v1, s12
	v_add3_u32 v2, v2, v68, v67
	v_add_nc_u32_e32 v1, v1, v33
	v_add3_u32 v2, v2, v66, v65
	v_cndmask_b32_e64 v1, 0, v1, s11
	v_add3_u32 v2, v2, v64, v72
	v_add_nc_u32_e32 v1, v1, v34
	v_mov_b32_dpp v5, v2 row_shr:1 row_mask:0xf bank_mask:0xf
	v_cndmask_b32_e64 v1, 0, v1, s10
	v_add_nc_u32_e32 v1, v1, v31
	v_cndmask_b32_e64 v1, 0, v1, s9
	v_add_nc_u32_e32 v1, v1, v32
	;; [unrolled: 2-line block ×10, first 2 shown]
	v_cndmask_b32_e32 v1, 0, v1, vcc_lo
	v_cmp_eq_u32_e32 vcc_lo, 0, v2
	v_add_nc_u32_e32 v1, v1, v79
	v_mov_b32_dpp v3, v1 row_shr:1 row_mask:0xf bank_mask:0xf
	v_cndmask_b32_e32 v3, 0, v3, vcc_lo
	v_cmp_eq_u32_e32 vcc_lo, 0, v4
	v_cndmask_b32_e64 v5, v5, 0, vcc_lo
	v_cndmask_b32_e64 v3, v3, 0, vcc_lo
	v_cmp_lt_u32_e32 vcc_lo, 1, v4
	v_add_nc_u32_e32 v2, v5, v2
	v_add_nc_u32_e32 v1, v3, v1
	v_mov_b32_dpp v3, v2 row_shr:2 row_mask:0xf bank_mask:0xf
	v_cmp_eq_u32_e64 s14, 0, v2
	v_mov_b32_dpp v5, v1 row_shr:2 row_mask:0xf bank_mask:0xf
	v_cndmask_b32_e32 v3, 0, v3, vcc_lo
	s_and_b32 vcc_lo, vcc_lo, s14
	v_cndmask_b32_e32 v5, 0, v5, vcc_lo
	v_cmp_lt_u32_e32 vcc_lo, 3, v4
	v_add_nc_u32_e32 v2, v2, v3
	v_add_nc_u32_e32 v1, v5, v1
	v_mov_b32_dpp v3, v2 row_shr:4 row_mask:0xf bank_mask:0xf
	v_cmp_eq_u32_e64 s14, 0, v2
	v_mov_b32_dpp v5, v1 row_shr:4 row_mask:0xf bank_mask:0xf
	v_cndmask_b32_e32 v3, 0, v3, vcc_lo
	s_and_b32 vcc_lo, vcc_lo, s14
	v_cndmask_b32_e32 v5, 0, v5, vcc_lo
	v_cmp_lt_u32_e32 vcc_lo, 7, v4
	v_add_nc_u32_e32 v2, v3, v2
	v_add_nc_u32_e32 v1, v1, v5
	v_bfe_i32 v5, v81, 4, 1
	v_mov_b32_dpp v3, v2 row_shr:8 row_mask:0xf bank_mask:0xf
	v_cmp_eq_u32_e64 s14, 0, v2
	v_mov_b32_dpp v4, v1 row_shr:8 row_mask:0xf bank_mask:0xf
	v_cndmask_b32_e32 v3, 0, v3, vcc_lo
	s_and_b32 vcc_lo, vcc_lo, s14
	s_mov_b32 s14, exec_lo
	v_cndmask_b32_e32 v4, 0, v4, vcc_lo
	v_add_nc_u32_e32 v4, v4, v1
	v_add_nc_u32_e32 v1, v3, v2
	ds_swizzle_b32 v2, v4 offset:swizzle(BROADCAST,32,15)
	ds_swizzle_b32 v3, v1 offset:swizzle(BROADCAST,32,15)
	v_cmp_eq_u32_e32 vcc_lo, 0, v1
	s_waitcnt lgkmcnt(1)
	v_cndmask_b32_e32 v2, 0, v2, vcc_lo
	s_waitcnt lgkmcnt(0)
	v_and_b32_e32 v3, v5, v3
	v_and_b32_e32 v2, v5, v2
	v_add_nc_u32_e32 v1, v3, v1
	v_lshlrev_b32_e32 v3, 3, v82
	v_add_nc_u32_e32 v2, v2, v4
	v_cmpx_eq_u32_e64 v0, v83
; %bb.87:
	ds_write_b64 v3, v[1:2] offset:2064
; %bb.88:
	s_or_b32 exec_lo, exec_lo, s14
	s_mov_b32 s15, exec_lo
	s_waitcnt lgkmcnt(0)
	s_barrier
	buffer_gl0_inv
	v_cmpx_gt_u32_e32 8, v0
	s_cbranch_execz .LBB19_90
; %bb.89:
	v_lshlrev_b32_e32 v6, 3, v0
	v_and_b32_e32 v8, 7, v81
	ds_read_b64 v[4:5], v6 offset:2064
	s_waitcnt lgkmcnt(0)
	v_mov_b32_dpp v7, v5 row_shr:1 row_mask:0xf bank_mask:0xf
	v_cmp_eq_u32_e32 vcc_lo, 0, v4
	v_mov_b32_dpp v37, v4 row_shr:1 row_mask:0xf bank_mask:0xf
	v_cndmask_b32_e32 v7, 0, v7, vcc_lo
	v_cmp_eq_u32_e32 vcc_lo, 0, v8
	v_cndmask_b32_e64 v37, v37, 0, vcc_lo
	v_cndmask_b32_e64 v7, v7, 0, vcc_lo
	v_cmp_lt_u32_e32 vcc_lo, 1, v8
	v_add_nc_u32_e32 v4, v37, v4
	v_add_nc_u32_e32 v5, v7, v5
	v_mov_b32_dpp v7, v4 row_shr:2 row_mask:0xf bank_mask:0xf
	v_cmp_eq_u32_e64 s14, 0, v4
	v_mov_b32_dpp v37, v5 row_shr:2 row_mask:0xf bank_mask:0xf
	v_cndmask_b32_e32 v7, 0, v7, vcc_lo
	s_and_b32 vcc_lo, vcc_lo, s14
	v_cndmask_b32_e32 v37, 0, v37, vcc_lo
	v_cmp_lt_u32_e32 vcc_lo, 3, v8
	v_add_nc_u32_e32 v4, v7, v4
	v_add_nc_u32_e32 v5, v37, v5
	v_mov_b32_dpp v7, v4 row_shr:4 row_mask:0xf bank_mask:0xf
	v_cmp_eq_u32_e64 s14, 0, v4
	v_mov_b32_dpp v8, v5 row_shr:4 row_mask:0xf bank_mask:0xf
	v_cndmask_b32_e32 v7, 0, v7, vcc_lo
	s_and_b32 vcc_lo, vcc_lo, s14
	v_cndmask_b32_e32 v8, 0, v8, vcc_lo
	v_add_nc_u32_e32 v4, v7, v4
	v_add_nc_u32_e32 v5, v8, v5
	ds_write_b64 v6, v[4:5] offset:2064
.LBB19_90:
	s_or_b32 exec_lo, exec_lo, s15
	v_mov_b32_e32 v37, 0
	v_mov_b32_e32 v38, 0
	s_mov_b32 s15, exec_lo
	v_cmp_gt_u32_e32 vcc_lo, 32, v0
	s_waitcnt lgkmcnt(0)
	s_barrier
	buffer_gl0_inv
	v_cmpx_lt_u32_e32 31, v0
	s_cbranch_execz .LBB19_92
; %bb.91:
	ds_read_b64 v[37:38], v3 offset:2056
	v_cmp_eq_u32_e64 s14, 0, v1
	s_waitcnt lgkmcnt(0)
	v_cndmask_b32_e64 v3, 0, v38, s14
	v_add_nc_u32_e32 v1, v37, v1
	v_add_nc_u32_e32 v2, v3, v2
.LBB19_92:
	s_or_b32 exec_lo, exec_lo, s15
	v_sub_co_u32 v3, s14, v81, 1
	v_cmp_gt_i32_e64 s15, 0, v3
	v_cndmask_b32_e64 v3, v3, v81, s15
	v_lshlrev_b32_e32 v3, 2, v3
	ds_bpermute_b32 v43, v3, v1
	ds_bpermute_b32 v44, v3, v2
	s_and_saveexec_b32 s18, vcc_lo
	s_cbranch_execz .LBB19_112
; %bb.93:
	v_mov_b32_e32 v4, 0
	ds_read_b64 v[1:2], v4 offset:2120
	s_and_saveexec_b32 s15, s14
	s_cbranch_execz .LBB19_95
; %bb.94:
	s_add_i32 s20, s6, 32
	s_mov_b32 s21, 0
	v_mov_b32_e32 v3, 1
	s_lshl_b64 s[20:21], s[20:21], 4
	s_add_u32 s20, s36, s20
	s_addc_u32 s21, s37, s21
	v_mov_b32_e32 v5, s20
	v_mov_b32_e32 v6, s21
	s_waitcnt lgkmcnt(0)
	;;#ASMSTART
	global_store_dwordx4 v[5:6], v[1:4] off	
s_waitcnt vmcnt(0)
	;;#ASMEND
.LBB19_95:
	s_or_b32 exec_lo, exec_lo, s15
	v_xad_u32 v39, v81, -1, s6
	s_mov_b32 s16, 0
	v_add_nc_u32_e32 v3, 32, v39
	v_lshlrev_b64 v[5:6], 4, v[3:4]
	v_add_co_u32 v40, vcc_lo, s36, v5
	v_add_co_ci_u32_e64 v41, null, s37, v6, vcc_lo
	;;#ASMSTART
	global_load_dwordx4 v[5:8], v[40:41] off glc dlc	
s_waitcnt vmcnt(0)
	;;#ASMEND
	v_cmp_eq_u16_sdwa s19, v7, v4 src0_sel:BYTE_0 src1_sel:DWORD
	s_and_saveexec_b32 s15, s19
	s_cbranch_execz .LBB19_99
; %bb.96:
	v_mov_b32_e32 v3, 0
.LBB19_97:                              ; =>This Inner Loop Header: Depth=1
	;;#ASMSTART
	global_load_dwordx4 v[5:8], v[40:41] off glc dlc	
s_waitcnt vmcnt(0)
	;;#ASMEND
	v_cmp_ne_u16_sdwa s19, v7, v3 src0_sel:BYTE_0 src1_sel:DWORD
	s_or_b32 s16, s19, s16
	s_andn2_b32 exec_lo, exec_lo, s16
	s_cbranch_execnz .LBB19_97
; %bb.98:
	s_or_b32 exec_lo, exec_lo, s16
.LBB19_99:
	s_or_b32 exec_lo, exec_lo, s15
	v_cmp_ne_u32_e32 vcc_lo, 31, v81
	v_mov_b32_e32 v46, 2
	v_lshlrev_b32_e64 v47, v81, -1
	v_cmp_gt_u32_e64 s16, 30, v81
	v_add_nc_u32_e32 v49, 2, v81
	v_add_co_ci_u32_e64 v3, null, 0, v81, vcc_lo
	v_cmp_eq_u16_sdwa s15, v7, v46 src0_sel:BYTE_0 src1_sel:DWORD
	v_cmp_eq_u32_e32 vcc_lo, 0, v5
	v_cndmask_b32_e64 v40, 0, 2, s16
	v_lshlrev_b32_e32 v45, 2, v3
	v_add_nc_u32_e32 v51, 4, v81
	v_and_or_b32 v8, s15, v47, 0x80000000
	v_add_nc_u32_e32 v53, 8, v81
	v_add_lshl_u32 v48, v40, v81, 2
	ds_bpermute_b32 v4, v45, v6
	ds_bpermute_b32 v3, v45, v5
	v_ffbl_b32_e32 v8, v8
	v_lshl_or_b32 v54, v81, 2, 64
	v_add_nc_u32_e32 v55, 16, v81
	v_cmp_lt_u32_e64 s15, v81, v8
	s_and_b32 vcc_lo, s15, vcc_lo
	s_waitcnt lgkmcnt(1)
	v_cndmask_b32_e32 v4, 0, v4, vcc_lo
	s_waitcnt lgkmcnt(0)
	v_cndmask_b32_e64 v3, 0, v3, s15
	v_add_nc_u32_e32 v4, v4, v6
	v_add_nc_u32_e32 v3, v3, v5
	ds_bpermute_b32 v6, v48, v4
	v_cmp_eq_u32_e32 vcc_lo, 0, v3
	s_waitcnt lgkmcnt(0)
	v_cndmask_b32_e32 v5, 0, v6, vcc_lo
	v_cmp_gt_u32_e32 vcc_lo, 28, v81
	ds_bpermute_b32 v6, v48, v3
	v_cndmask_b32_e64 v40, 0, 4, vcc_lo
	v_cmp_gt_u32_e32 vcc_lo, v49, v8
	v_add_lshl_u32 v50, v40, v81, 2
	v_cndmask_b32_e64 v5, v5, 0, vcc_lo
	v_add_nc_u32_e32 v4, v5, v4
	ds_bpermute_b32 v5, v50, v4
	s_waitcnt lgkmcnt(1)
	v_cndmask_b32_e64 v6, v6, 0, vcc_lo
	v_add_nc_u32_e32 v3, v3, v6
	v_cmp_eq_u32_e32 vcc_lo, 0, v3
	ds_bpermute_b32 v6, v50, v3
	s_waitcnt lgkmcnt(1)
	v_cndmask_b32_e32 v5, 0, v5, vcc_lo
	v_cmp_gt_u32_e32 vcc_lo, 24, v81
	v_cndmask_b32_e64 v40, 0, 8, vcc_lo
	v_cmp_gt_u32_e32 vcc_lo, v51, v8
	v_add_lshl_u32 v52, v40, v81, 2
	v_cndmask_b32_e64 v5, v5, 0, vcc_lo
	s_waitcnt lgkmcnt(0)
	v_cndmask_b32_e64 v6, v6, 0, vcc_lo
	v_mov_b32_e32 v40, 0
	v_add_nc_u32_e32 v4, v4, v5
	v_add_nc_u32_e32 v3, v3, v6
	ds_bpermute_b32 v5, v52, v4
	ds_bpermute_b32 v6, v52, v3
	v_cmp_eq_u32_e32 vcc_lo, 0, v3
	s_waitcnt lgkmcnt(1)
	v_cndmask_b32_e32 v5, 0, v5, vcc_lo
	v_cmp_gt_u32_e32 vcc_lo, v53, v8
	v_cndmask_b32_e64 v5, v5, 0, vcc_lo
	v_add_nc_u32_e32 v4, v4, v5
	s_waitcnt lgkmcnt(0)
	v_cndmask_b32_e64 v5, v6, 0, vcc_lo
	ds_bpermute_b32 v6, v54, v4
	v_add_nc_u32_e32 v3, v3, v5
	ds_bpermute_b32 v5, v54, v3
	v_cmp_eq_u32_e32 vcc_lo, 0, v3
	s_waitcnt lgkmcnt(1)
	v_cndmask_b32_e32 v6, 0, v6, vcc_lo
	v_cmp_gt_u32_e32 vcc_lo, v55, v8
	v_cndmask_b32_e64 v6, v6, 0, vcc_lo
	s_waitcnt lgkmcnt(0)
	v_cndmask_b32_e64 v5, v5, 0, vcc_lo
	v_add_nc_u32_e32 v6, v6, v4
	v_add_nc_u32_e32 v5, v5, v3
	s_branch .LBB19_103
.LBB19_100:                             ;   in Loop: Header=BB19_103 Depth=1
	s_or_b32 exec_lo, exec_lo, s16
.LBB19_101:                             ;   in Loop: Header=BB19_103 Depth=1
	s_or_b32 exec_lo, exec_lo, s15
	v_cmp_eq_u16_sdwa s15, v7, v46 src0_sel:BYTE_0 src1_sel:DWORD
	ds_bpermute_b32 v41, v45, v6
	v_cmp_eq_u32_e32 vcc_lo, 0, v5
	ds_bpermute_b32 v8, v45, v5
	v_subrev_nc_u32_e32 v39, 32, v39
	v_and_or_b32 v42, s15, v47, 0x80000000
	v_ffbl_b32_e32 v42, v42
	v_cmp_lt_u32_e64 s15, v81, v42
	s_and_b32 vcc_lo, s15, vcc_lo
	s_waitcnt lgkmcnt(1)
	v_cndmask_b32_e32 v41, 0, v41, vcc_lo
	s_waitcnt lgkmcnt(0)
	v_cndmask_b32_e64 v8, 0, v8, s15
	s_mov_b32 s15, 0
	v_add_nc_u32_e32 v6, v41, v6
	v_add_nc_u32_e32 v5, v8, v5
	ds_bpermute_b32 v41, v48, v6
	v_cmp_eq_u32_e32 vcc_lo, 0, v5
	s_waitcnt lgkmcnt(0)
	v_cndmask_b32_e32 v8, 0, v41, vcc_lo
	ds_bpermute_b32 v41, v48, v5
	v_cmp_gt_u32_e32 vcc_lo, v49, v42
	v_cndmask_b32_e64 v8, v8, 0, vcc_lo
	v_add_nc_u32_e32 v6, v8, v6
	ds_bpermute_b32 v8, v50, v6
	s_waitcnt lgkmcnt(1)
	v_cndmask_b32_e64 v41, v41, 0, vcc_lo
	v_add_nc_u32_e32 v5, v5, v41
	v_cmp_eq_u32_e32 vcc_lo, 0, v5
	ds_bpermute_b32 v41, v50, v5
	s_waitcnt lgkmcnt(1)
	v_cndmask_b32_e32 v8, 0, v8, vcc_lo
	v_cmp_gt_u32_e32 vcc_lo, v51, v42
	v_cndmask_b32_e64 v8, v8, 0, vcc_lo
	v_add_nc_u32_e32 v6, v6, v8
	s_waitcnt lgkmcnt(0)
	v_cndmask_b32_e64 v41, v41, 0, vcc_lo
	ds_bpermute_b32 v8, v52, v6
	v_add_nc_u32_e32 v5, v5, v41
	ds_bpermute_b32 v41, v52, v5
	v_cmp_eq_u32_e32 vcc_lo, 0, v5
	s_waitcnt lgkmcnt(1)
	v_cndmask_b32_e32 v8, 0, v8, vcc_lo
	v_cmp_gt_u32_e32 vcc_lo, v53, v42
	v_cndmask_b32_e64 v8, v8, 0, vcc_lo
	s_waitcnt lgkmcnt(0)
	v_cndmask_b32_e64 v41, v41, 0, vcc_lo
	v_add_nc_u32_e32 v6, v6, v8
	v_add_nc_u32_e32 v5, v5, v41
	ds_bpermute_b32 v8, v54, v6
	ds_bpermute_b32 v41, v54, v5
	v_cmp_eq_u32_e32 vcc_lo, 0, v5
	s_waitcnt lgkmcnt(1)
	v_cndmask_b32_e32 v8, 0, v8, vcc_lo
	v_cmp_gt_u32_e32 vcc_lo, v55, v42
	v_cndmask_b32_e64 v8, v8, 0, vcc_lo
	v_add_nc_u32_e32 v6, v8, v6
	s_waitcnt lgkmcnt(0)
	v_cndmask_b32_e64 v8, v41, 0, vcc_lo
	v_cmp_eq_u32_e32 vcc_lo, 0, v3
	v_add3_u32 v5, v5, v3, v8
	v_cndmask_b32_e32 v6, 0, v6, vcc_lo
	v_add_nc_u32_e32 v6, v6, v4
.LBB19_102:                             ;   in Loop: Header=BB19_103 Depth=1
	s_and_b32 vcc_lo, exec_lo, s15
	s_cbranch_vccnz .LBB19_108
.LBB19_103:                             ; =>This Loop Header: Depth=1
                                        ;     Child Loop BB19_106 Depth 2
	v_cmp_ne_u16_sdwa s15, v7, v46 src0_sel:BYTE_0 src1_sel:DWORD
	v_mov_b32_e32 v4, v6
	v_mov_b32_e32 v3, v5
                                        ; implicit-def: $vgpr6
                                        ; implicit-def: $vgpr5
                                        ; implicit-def: $vgpr7
	s_cmp_lg_u32 s15, exec_lo
	s_mov_b32 s15, -1
	s_cbranch_scc1 .LBB19_102
; %bb.104:                              ;   in Loop: Header=BB19_103 Depth=1
	v_lshlrev_b64 v[5:6], 4, v[39:40]
	v_add_co_u32 v41, vcc_lo, s36, v5
	v_add_co_ci_u32_e64 v42, null, s37, v6, vcc_lo
	;;#ASMSTART
	global_load_dwordx4 v[5:8], v[41:42] off glc dlc	
s_waitcnt vmcnt(0)
	;;#ASMEND
	v_cmp_eq_u16_sdwa s16, v7, v40 src0_sel:BYTE_0 src1_sel:DWORD
	s_and_saveexec_b32 s15, s16
	s_cbranch_execz .LBB19_101
; %bb.105:                              ;   in Loop: Header=BB19_103 Depth=1
	s_mov_b32 s16, 0
.LBB19_106:                             ;   Parent Loop BB19_103 Depth=1
                                        ; =>  This Inner Loop Header: Depth=2
	;;#ASMSTART
	global_load_dwordx4 v[5:8], v[41:42] off glc dlc	
s_waitcnt vmcnt(0)
	;;#ASMEND
	v_cmp_ne_u16_sdwa s19, v7, v40 src0_sel:BYTE_0 src1_sel:DWORD
	s_or_b32 s16, s19, s16
	s_andn2_b32 exec_lo, exec_lo, s16
	s_cbranch_execnz .LBB19_106
	s_branch .LBB19_100
.LBB19_107:
                                        ; implicit-def: $vgpr1
                                        ; implicit-def: $vgpr80
                                        ; implicit-def: $vgpr7_vgpr8
                                        ; implicit-def: $vgpr39_vgpr40
                                        ; implicit-def: $vgpr43_vgpr44
                                        ; implicit-def: $vgpr5_vgpr6
                                        ; implicit-def: $vgpr57_vgpr58
                                        ; implicit-def: $vgpr61_vgpr62
                                        ; implicit-def: $vgpr59_vgpr60
                                        ; implicit-def: $vgpr55_vgpr56
                                        ; implicit-def: $vgpr51_vgpr52
                                        ; implicit-def: $vgpr47_vgpr48
                                        ; implicit-def: $vgpr45_vgpr46
                                        ; implicit-def: $vgpr49_vgpr50
                                        ; implicit-def: $vgpr53_vgpr54
                                        ; implicit-def: $vgpr37_vgpr38
                                        ; implicit-def: $vgpr41_vgpr42
	s_cbranch_execnz .LBB19_113
	s_branch .LBB19_124
.LBB19_108:
	s_and_saveexec_b32 s15, s14
	s_cbranch_execz .LBB19_110
; %bb.109:
	v_cmp_eq_u32_e32 vcc_lo, 0, v1
	s_mov_b32 s21, 0
	s_add_i32 s20, s6, 32
	v_mov_b32_e32 v8, 0
	s_lshl_b64 s[20:21], s[20:21], 4
	v_cndmask_b32_e32 v6, 0, v4, vcc_lo
	s_add_u32 s20, s36, s20
	s_addc_u32 s21, s37, s21
	v_add_nc_u32_e32 v5, v3, v1
	v_mov_b32_e32 v40, s21
	v_add_nc_u32_e32 v6, v6, v2
	v_mov_b32_e32 v7, 2
	v_mov_b32_e32 v39, s20
	;;#ASMSTART
	global_store_dwordx4 v[39:40], v[5:8] off	
s_waitcnt vmcnt(0)
	;;#ASMEND
	ds_write_b128 v8, v[1:4] offset:2048
.LBB19_110:
	s_or_b32 exec_lo, exec_lo, s15
	v_cmp_eq_u32_e32 vcc_lo, 0, v0
	s_and_b32 exec_lo, exec_lo, vcc_lo
; %bb.111:
	v_mov_b32_e32 v1, 0
	ds_write_b64 v1, v[3:4] offset:2120
.LBB19_112:
	s_or_b32 exec_lo, exec_lo, s18
	v_mov_b32_e32 v3, 0
	s_waitcnt lgkmcnt(0)
	s_barrier
	buffer_gl0_inv
	v_cndmask_b32_e64 v4, v43, v37, s14
	ds_read_b64 v[1:2], v3 offset:2120
	v_cndmask_b32_e64 v5, v44, v38, s14
	v_cmp_eq_u32_e64 s6, 0, v78
	s_waitcnt lgkmcnt(0)
	v_cmp_eq_u32_e32 vcc_lo, 0, v4
	s_barrier
	buffer_gl0_inv
	v_cndmask_b32_e32 v6, 0, v2, vcc_lo
	v_cmp_eq_u32_e32 vcc_lo, 0, v0
	v_add_nc_u32_e32 v5, v6, v5
	v_cndmask_b32_e32 v58, v5, v2, vcc_lo
	v_cndmask_b32_e64 v2, 0, v58, s6
	v_add_nc_u32_e32 v62, v2, v35
	v_cndmask_b32_e64 v2, 0, v62, s13
	v_add_nc_u32_e32 v60, v2, v36
	;; [unrolled: 2-line block ×6, first 2 shown]
	v_cndmask_b32_e64 v2, v4, 0, vcc_lo
	v_cndmask_b32_e64 v4, 0, v46, s8
	v_add_nc_u32_e32 v57, v1, v2
	v_add_nc_u32_e32 v50, v4, v15
	v_add_nc_u32_e32 v61, v57, v78
	v_cndmask_b32_e64 v1, 0, v50, s7
	v_add_nc_u32_e32 v59, v61, v77
	v_add_nc_u32_e32 v54, v1, v16
	v_add_nc_u32_e32 v55, v59, v76
	;; [unrolled: 4-line block ×4, first 2 shown]
	v_cndmask_b32_e64 v1, 0, v42, s3
	v_add_nc_u32_e32 v53, v49, v70
	v_add_nc_u32_e32 v6, v1, v11
	ds_read_b128 v[1:4], v3 offset:2048
	v_add_nc_u32_e32 v37, v53, v69
	v_cndmask_b32_e64 v5, 0, v6, s2
	v_add_nc_u32_e32 v41, v37, v68
	v_add_nc_u32_e32 v44, v5, v12
	;; [unrolled: 1-line block ×3, first 2 shown]
	v_cndmask_b32_e64 v7, 0, v44, s1
	v_add_nc_u32_e32 v43, v5, v66
	v_add_nc_u32_e32 v40, v7, v9
	s_waitcnt lgkmcnt(0)
	v_cmp_eq_u32_e32 vcc_lo, 0, v1
	v_add_nc_u32_e32 v39, v43, v65
	v_cndmask_b32_e64 v8, 0, v40, s0
	v_cndmask_b32_e32 v4, 0, v4, vcc_lo
	v_add_nc_u32_e32 v7, v39, v64
	v_add_nc_u32_e32 v8, v8, v10
	;; [unrolled: 1-line block ×3, first 2 shown]
	s_branch .LBB19_124
.LBB19_113:
	s_cmp_eq_u64 s[34:35], 0
	v_mov_b32_e32 v7, v35
	s_cselect_b32 s0, -1, 0
	s_or_b32 s0, s17, s0
	s_and_b32 vcc_lo, exec_lo, s0
	s_cbranch_vccnz .LBB19_115
; %bb.114:
	v_mov_b32_e32 v1, 0
	global_load_dword v7, v1, s[34:35]
.LBB19_115:
	v_cmp_eq_u32_e64 s6, 0, v77
	v_cmp_eq_u32_e64 s7, 0, v76
	;; [unrolled: 1-line block ×5, first 2 shown]
	v_cndmask_b32_e64 v1, 0, v35, s6
	v_cmp_eq_u32_e64 s11, 0, v71
	v_cmp_eq_u32_e64 s5, 0, v70
	v_cmp_eq_u32_e64 s4, 0, v69
	v_cmp_eq_u32_e64 s3, 0, v68
	v_add_nc_u32_e32 v1, v1, v36
	v_cmp_eq_u32_e64 s2, 0, v67
	v_cmp_eq_u32_e64 s1, 0, v66
	v_cmp_eq_u32_e32 vcc_lo, 0, v65
	v_add3_u32 v2, v84, v73, v71
	v_cndmask_b32_e64 v1, 0, v1, s7
	v_cmp_eq_u32_e64 s0, 0, v64
	v_cmp_eq_u32_e64 s12, 0, v72
	v_and_b32_e32 v4, 15, v81
	v_add3_u32 v2, v2, v70, v69
	v_add_nc_u32_e32 v1, v1, v33
	v_add3_u32 v2, v2, v68, v67
	v_cndmask_b32_e64 v1, 0, v1, s8
	v_add3_u32 v2, v2, v66, v65
	v_add_nc_u32_e32 v1, v1, v34
	v_add3_u32 v2, v2, v64, v72
	v_cndmask_b32_e64 v1, 0, v1, s9
	v_mov_b32_dpp v5, v2 row_shr:1 row_mask:0xf bank_mask:0xf
	v_add_nc_u32_e32 v1, v1, v31
	v_cndmask_b32_e64 v1, 0, v1, s10
	v_add_nc_u32_e32 v1, v1, v32
	v_cndmask_b32_e64 v1, 0, v1, s11
	;; [unrolled: 2-line block ×7, first 2 shown]
	v_add_nc_u32_e32 v1, v1, v12
	v_cndmask_b32_e32 v1, 0, v1, vcc_lo
	v_add_nc_u32_e32 v1, v1, v9
	v_cndmask_b32_e64 v1, 0, v1, s0
	v_add_nc_u32_e32 v1, v1, v10
	v_cndmask_b32_e64 v1, 0, v1, s12
	v_cmp_eq_u32_e64 s12, 0, v2
	v_add_nc_u32_e32 v1, v1, v79
	v_mov_b32_dpp v3, v1 row_shr:1 row_mask:0xf bank_mask:0xf
	v_cndmask_b32_e64 v3, 0, v3, s12
	v_cmp_eq_u32_e64 s12, 0, v4
	v_cndmask_b32_e64 v5, v5, 0, s12
	v_cndmask_b32_e64 v3, v3, 0, s12
	v_cmp_lt_u32_e64 s12, 1, v4
	v_add_nc_u32_e32 v2, v5, v2
	v_add_nc_u32_e32 v1, v3, v1
	v_mov_b32_dpp v3, v2 row_shr:2 row_mask:0xf bank_mask:0xf
	v_cmp_eq_u32_e64 s13, 0, v2
	v_mov_b32_dpp v5, v1 row_shr:2 row_mask:0xf bank_mask:0xf
	v_cndmask_b32_e64 v3, 0, v3, s12
	s_and_b32 s12, s12, s13
	v_cndmask_b32_e64 v5, 0, v5, s12
	v_cmp_lt_u32_e64 s12, 3, v4
	v_add_nc_u32_e32 v2, v2, v3
	v_add_nc_u32_e32 v1, v5, v1
	v_mov_b32_dpp v3, v2 row_shr:4 row_mask:0xf bank_mask:0xf
	v_cmp_eq_u32_e64 s13, 0, v2
	v_mov_b32_dpp v5, v1 row_shr:4 row_mask:0xf bank_mask:0xf
	v_cndmask_b32_e64 v3, 0, v3, s12
	s_and_b32 s12, s12, s13
	v_cndmask_b32_e64 v5, 0, v5, s12
	v_cmp_lt_u32_e64 s12, 7, v4
	v_add_nc_u32_e32 v2, v3, v2
	v_add_nc_u32_e32 v1, v1, v5
	v_bfe_i32 v5, v81, 4, 1
	v_mov_b32_dpp v3, v2 row_shr:8 row_mask:0xf bank_mask:0xf
	v_cmp_eq_u32_e64 s13, 0, v2
	v_mov_b32_dpp v4, v1 row_shr:8 row_mask:0xf bank_mask:0xf
	v_cndmask_b32_e64 v3, 0, v3, s12
	s_and_b32 s12, s12, s13
	s_mov_b32 s13, exec_lo
	v_cndmask_b32_e64 v4, 0, v4, s12
	v_add_nc_u32_e32 v4, v4, v1
	v_add_nc_u32_e32 v1, v3, v2
	ds_swizzle_b32 v2, v4 offset:swizzle(BROADCAST,32,15)
	ds_swizzle_b32 v3, v1 offset:swizzle(BROADCAST,32,15)
	v_cmp_eq_u32_e64 s12, 0, v1
	s_waitcnt lgkmcnt(1)
	v_cndmask_b32_e64 v2, 0, v2, s12
	s_waitcnt lgkmcnt(0)
	v_and_b32_e32 v3, v5, v3
	v_and_b32_e32 v2, v5, v2
	v_add_nc_u32_e32 v1, v3, v1
	v_add_nc_u32_e32 v2, v2, v4
	v_lshlrev_b32_e32 v4, 3, v82
	v_cmpx_eq_u32_e64 v0, v83
; %bb.116:
	ds_write_b64 v4, v[1:2] offset:2064
; %bb.117:
	s_or_b32 exec_lo, exec_lo, s13
	s_mov_b32 s14, exec_lo
	s_waitcnt vmcnt(0) lgkmcnt(0)
	s_barrier
	buffer_gl0_inv
	v_cmpx_gt_u32_e32 8, v0
	s_cbranch_execz .LBB19_119
; %bb.118:
	v_lshlrev_b32_e32 v3, 3, v0
	v_and_b32_e32 v37, 7, v81
	ds_read_b64 v[5:6], v3 offset:2064
	s_waitcnt lgkmcnt(0)
	v_mov_b32_dpp v8, v6 row_shr:1 row_mask:0xf bank_mask:0xf
	v_cmp_eq_u32_e64 s12, 0, v5
	v_mov_b32_dpp v38, v5 row_shr:1 row_mask:0xf bank_mask:0xf
	v_cndmask_b32_e64 v8, 0, v8, s12
	v_cmp_eq_u32_e64 s12, 0, v37
	v_cndmask_b32_e64 v38, v38, 0, s12
	v_cndmask_b32_e64 v8, v8, 0, s12
	v_cmp_lt_u32_e64 s12, 1, v37
	v_add_nc_u32_e32 v5, v38, v5
	v_add_nc_u32_e32 v6, v8, v6
	v_mov_b32_dpp v8, v5 row_shr:2 row_mask:0xf bank_mask:0xf
	v_cmp_eq_u32_e64 s13, 0, v5
	v_mov_b32_dpp v38, v6 row_shr:2 row_mask:0xf bank_mask:0xf
	v_cndmask_b32_e64 v8, 0, v8, s12
	s_and_b32 s12, s12, s13
	v_cndmask_b32_e64 v38, 0, v38, s12
	v_cmp_lt_u32_e64 s12, 3, v37
	v_add_nc_u32_e32 v5, v8, v5
	v_add_nc_u32_e32 v6, v38, v6
	v_mov_b32_dpp v8, v5 row_shr:4 row_mask:0xf bank_mask:0xf
	v_cmp_eq_u32_e64 s13, 0, v5
	v_mov_b32_dpp v37, v6 row_shr:4 row_mask:0xf bank_mask:0xf
	v_cndmask_b32_e64 v8, 0, v8, s12
	s_and_b32 s12, s12, s13
	v_cndmask_b32_e64 v37, 0, v37, s12
	v_add_nc_u32_e32 v5, v8, v5
	v_add_nc_u32_e32 v6, v37, v6
	ds_write_b64 v3, v[5:6] offset:2064
.LBB19_119:
	s_or_b32 exec_lo, exec_lo, s14
	v_mov_b32_e32 v5, 0
	v_mov_b32_e32 v3, 0
	v_mov_b32_e32 v6, v7
	s_mov_b32 s13, exec_lo
	s_waitcnt lgkmcnt(0)
	s_barrier
	buffer_gl0_inv
	v_cmpx_lt_u32_e32 31, v0
	s_cbranch_execz .LBB19_121
; %bb.120:
	ds_read_b64 v[3:4], v4 offset:2056
	s_waitcnt lgkmcnt(0)
	v_cmp_eq_u32_e64 s12, 0, v3
	v_cndmask_b32_e64 v6, 0, v7, s12
	v_add_nc_u32_e32 v6, v6, v4
.LBB19_121:
	s_or_b32 exec_lo, exec_lo, s13
	v_sub_co_u32 v4, s12, v81, 1
	v_cmp_gt_i32_e64 s13, 0, v4
	v_cndmask_b32_e64 v4, v4, v81, s13
	v_cmp_eq_u32_e64 s13, 0, v1
	v_add_nc_u32_e32 v1, v3, v1
	v_lshlrev_b32_e32 v4, 2, v4
	v_cndmask_b32_e64 v8, 0, v6, s13
	v_cmp_eq_u32_e64 s13, 0, v78
	ds_bpermute_b32 v1, v4, v1
	v_add_nc_u32_e32 v2, v8, v2
	ds_bpermute_b32 v2, v4, v2
	s_waitcnt lgkmcnt(1)
	v_cndmask_b32_e64 v1, v1, v3, s12
	s_waitcnt lgkmcnt(0)
	v_cndmask_b32_e64 v2, v2, v6, s12
	v_cmp_eq_u32_e64 s12, 0, v0
	v_cndmask_b32_e64 v58, v2, v7, s12
	v_cndmask_b32_e64 v57, v1, 0, s12
	;; [unrolled: 1-line block ×3, first 2 shown]
	v_add_nc_u32_e32 v61, v57, v78
	v_add_nc_u32_e32 v62, v2, v35
	v_add_nc_u32_e32 v59, v61, v77
	v_cndmask_b32_e64 v2, 0, v62, s6
	v_add_nc_u32_e32 v55, v59, v76
	v_add_nc_u32_e32 v60, v2, v36
	v_add_nc_u32_e32 v51, v55, v75
	v_cndmask_b32_e64 v2, 0, v60, s7
	;; [unrolled: 4-line block ×5, first 2 shown]
	v_add_nc_u32_e32 v46, v2, v32
	v_cndmask_b32_e64 v2, 0, v46, s11
	v_add_nc_u32_e32 v50, v2, v15
	v_cndmask_b32_e64 v1, 0, v50, s5
	;; [unrolled: 2-line block ×5, first 2 shown]
	v_add_nc_u32_e32 v6, v1, v11
	ds_read_b64 v[1:2], v5 offset:2120
	v_add_nc_u32_e32 v5, v41, v67
	v_cndmask_b32_e64 v3, 0, v6, s1
	v_add_nc_u32_e32 v43, v5, v66
	v_add_nc_u32_e32 v44, v3, v12
	;; [unrolled: 1-line block ×3, first 2 shown]
	v_cndmask_b32_e32 v3, 0, v44, vcc_lo
	v_add_nc_u32_e32 v40, v3, v9
	s_waitcnt lgkmcnt(0)
	v_cmp_eq_u32_e32 vcc_lo, 0, v1
	v_cndmask_b32_e64 v3, 0, v40, s0
	v_cndmask_b32_e32 v4, 0, v7, vcc_lo
	v_add_nc_u32_e32 v7, v39, v64
	v_add_nc_u32_e32 v8, v3, v10
	;; [unrolled: 1-line block ×3, first 2 shown]
	s_and_saveexec_b32 s0, s12
	s_cbranch_execz .LBB19_123
; %bb.122:
	s_add_u32 s2, s36, 0x200
	s_addc_u32 s3, s37, 0
	v_mov_b32_e32 v3, 2
	v_mov_b32_e32 v10, s3
	;; [unrolled: 1-line block ×5, first 2 shown]
	;;#ASMSTART
	global_store_dwordx4 v[9:10], v[1:4] off	
s_waitcnt vmcnt(0)
	;;#ASMEND
.LBB19_123:
	s_or_b32 exec_lo, exec_lo, s0
	v_mov_b32_e32 v3, 0
.LBB19_124:
	s_cmp_eq_u64 s[46:47], 0
	v_mov_b32_e32 v9, 0
	s_cselect_b32 s0, -1, 0
	v_mov_b32_e32 v10, 0
	s_or_b32 s0, s17, s0
	s_and_b32 vcc_lo, exec_lo, s0
	s_barrier
	buffer_gl0_inv
	s_cbranch_vccnz .LBB19_126
; %bb.125:
	v_mov_b32_e32 v2, 0
	global_load_dwordx2 v[9:10], v2, s[46:47]
.LBB19_126:
	v_cmp_eq_u32_e32 vcc_lo, 0, v78
	v_cmp_ne_u32_e64 s14, 0, v78
	v_cmp_ne_u32_e64 s13, 0, v77
	;; [unrolled: 1-line block ×4, first 2 shown]
	v_cndmask_b32_e64 v2, 1, 2, vcc_lo
	v_cmp_eq_u32_e32 vcc_lo, 0, v77
	v_cmp_ne_u32_e64 s10, 0, v74
	v_cmp_ne_u32_e64 s9, 0, v73
	;; [unrolled: 1-line block ×4, first 2 shown]
	v_cndmask_b32_e64 v4, 1, 2, vcc_lo
	v_cmp_eq_u32_e32 vcc_lo, 0, v76
	v_cmp_ne_u32_e64 s8, 0, v69
	v_cmp_ne_u32_e64 s6, 0, v68
	;; [unrolled: 1-line block ×3, first 2 shown]
	v_and_b32_e32 v2, v4, v2
	v_cndmask_b32_e64 v11, 1, 2, vcc_lo
	v_cmp_eq_u32_e32 vcc_lo, 0, v75
	v_cmp_ne_u32_e64 s3, 0, v66
	v_cmp_ne_u32_e64 s2, 0, v65
	;; [unrolled: 1-line block ×3, first 2 shown]
	v_and_b32_e32 v2, v2, v11
	v_cndmask_b32_e64 v4, 1, 2, vcc_lo
	v_cmp_eq_u32_e32 vcc_lo, 0, v74
	v_cmp_ne_u32_e64 s0, 0, v72
	s_mov_b32 s16, -1
	v_and_b32_e32 v2, v2, v4
	v_cndmask_b32_e64 v11, 1, 2, vcc_lo
	v_cmp_eq_u32_e32 vcc_lo, 0, v73
	v_and_b32_e32 v2, v2, v11
	v_cndmask_b32_e64 v4, 1, 2, vcc_lo
	v_cmp_eq_u32_e32 vcc_lo, 0, v71
	s_waitcnt vmcnt(0)
	v_lshlrev_b64 v[11:12], 2, v[9:10]
	v_and_b32_e32 v2, v2, v4
	v_cndmask_b32_e64 v13, 1, 2, vcc_lo
	v_cmp_eq_u32_e32 vcc_lo, 0, v70
	v_mov_b32_e32 v4, 0
	v_and_b32_e32 v2, v2, v13
	v_cndmask_b32_e64 v14, 1, 2, vcc_lo
	v_cmp_eq_u32_e32 vcc_lo, 0, v69
	v_and_b32_e32 v2, v2, v14
	v_cndmask_b32_e64 v13, 1, 2, vcc_lo
	v_cmp_eq_u32_e32 vcc_lo, 0, v68
	;; [unrolled: 3-line block ×5, first 2 shown]
	v_lshlrev_b64 v[13:14], 2, v[3:4]
	v_and_b32_e32 v2, v2, v15
	v_cndmask_b32_e64 v16, 1, 2, vcc_lo
	v_cmp_eq_u32_e32 vcc_lo, 0, v64
	v_and_b32_e32 v16, v2, v16
	v_cndmask_b32_e64 v31, 1, 2, vcc_lo
	v_add_co_u32 v4, vcc_lo, s26, v11
	v_add_co_ci_u32_e64 v15, null, s27, v12, vcc_lo
	v_add_co_u32 v2, vcc_lo, v4, v13
	v_add_co_ci_u32_e64 v4, null, v15, v14, vcc_lo
	v_cmp_eq_u32_e32 vcc_lo, 0, v72
	v_and_b32_e32 v15, v16, v31
	v_cndmask_b32_e64 v16, 1, 2, vcc_lo
	v_cmp_gt_u32_e32 vcc_lo, 0x100, v1
	v_and_b32_e32 v15, v15, v16
	v_cmp_gt_i16_e64 s15, 2, v15
	s_cbranch_vccz .LBB19_133
; %bb.127:
	s_and_saveexec_b32 s16, s15
	s_cbranch_execz .LBB19_132
; %bb.128:
	s_mov_b32 s17, 0
	s_mov_b32 s15, exec_lo
	v_cmpx_ne_u16_e32 1, v15
	s_xor_b32 s15, exec_lo, s15
	s_cbranch_execnz .LBB19_164
; %bb.129:
	s_andn2_saveexec_b32 s15, s15
	s_cbranch_execnz .LBB19_180
.LBB19_130:
	s_or_b32 exec_lo, exec_lo, s15
	s_and_b32 exec_lo, exec_lo, s17
	s_cbranch_execz .LBB19_132
.LBB19_131:
	v_sub_nc_u32_e32 v31, v7, v3
	v_mov_b32_e32 v32, 0
	v_lshlrev_b64 v[31:32], 2, v[31:32]
	v_add_co_u32 v31, vcc_lo, v2, v31
	v_add_co_ci_u32_e64 v32, null, v4, v32, vcc_lo
	global_store_dword v[31:32], v63, off
.LBB19_132:
	s_or_b32 exec_lo, exec_lo, s16
	s_mov_b32 s16, 0
.LBB19_133:
	s_and_b32 vcc_lo, exec_lo, s16
	s_cbranch_vccz .LBB19_143
; %bb.134:
	s_mov_b32 s15, exec_lo
	v_cmpx_gt_i16_e32 2, v15
	s_cbranch_execz .LBB19_139
; %bb.135:
	s_mov_b32 s17, 0
	s_mov_b32 s16, exec_lo
	v_cmpx_ne_u16_e32 1, v15
	s_xor_b32 s16, exec_lo, s16
	s_cbranch_execnz .LBB19_181
; %bb.136:
	s_andn2_saveexec_b32 s0, s16
	s_cbranch_execnz .LBB19_197
.LBB19_137:
	s_or_b32 exec_lo, exec_lo, s0
	s_and_b32 exec_lo, exec_lo, s17
.LBB19_138:
	v_sub_nc_u32_e32 v15, v7, v3
	v_lshlrev_b32_e32 v15, 2, v15
	ds_write_b32 v15, v63
.LBB19_139:
	s_or_b32 exec_lo, exec_lo, s15
	s_mov_b32 s1, exec_lo
	s_waitcnt lgkmcnt(0)
	s_waitcnt_vscnt null, 0x0
	s_barrier
	buffer_gl0_inv
	v_cmpx_lt_u32_e64 v0, v1
	s_cbranch_execz .LBB19_142
; %bb.140:
	v_lshlrev_b32_e32 v17, 2, v0
	v_mov_b32_e32 v16, 0
	v_mov_b32_e32 v15, v0
	s_mov_b32 s2, 0
	.p2align	6
.LBB19_141:                             ; =>This Inner Loop Header: Depth=1
	ds_read_b32 v20, v17
	v_lshlrev_b64 v[18:19], 2, v[15:16]
	v_add_nc_u32_e32 v15, 0x100, v15
	v_add_nc_u32_e32 v17, 0x400, v17
	v_cmp_ge_u32_e32 vcc_lo, v15, v1
	v_add_co_u32 v18, s0, v2, v18
	v_add_co_ci_u32_e64 v19, null, v4, v19, s0
	s_or_b32 s2, vcc_lo, s2
	s_waitcnt lgkmcnt(0)
	global_store_dword v[18:19], v20, off
	s_andn2_b32 exec_lo, exec_lo, s2
	s_cbranch_execnz .LBB19_141
.LBB19_142:
	s_or_b32 exec_lo, exec_lo, s1
.LBB19_143:
	s_cmpk_lg_i32 s33, 0xf00
	v_cmp_eq_u32_e32 vcc_lo, 0, v0
	s_cselect_b32 s0, -1, 0
	v_cndmask_b32_e64 v4, 0, 1, s40
	s_and_b32 s0, s23, s0
	v_mad_i32_i24 v16, v0, -15, s33
	v_cndmask_b32_e64 v15, 0, 1, s0
	s_mul_hi_u32 s0, s33, 0x88888889
	s_and_b32 s1, vcc_lo, s40
	s_lshr_b32 s0, s0, 3
	v_sub_nc_u32_e32 v2, v1, v4
	v_cndmask_b32_e64 v17, v78, 0, s1
	v_cmp_eq_u32_e32 vcc_lo, s0, v0
	v_cmp_ne_u32_e64 s0, 0, v16
	s_mov_b32 s16, -1
	v_add_nc_u32_e32 v2, v2, v15
	s_waitcnt_vscnt null, 0x0
	s_and_b32 vcc_lo, s23, vcc_lo
	v_cndmask_b32_e64 v15, 1, v17, s0
	v_cmp_ne_u32_e64 s0, 1, v16
	s_barrier
	buffer_gl0_inv
	v_cndmask_b32_e32 v15, v17, v15, vcc_lo
	v_cndmask_b32_e64 v18, 1, v77, s0
	v_cmp_ne_u32_e64 s0, 14, v16
	v_cmp_ne_u32_e64 s14, 0, v15
	v_cndmask_b32_e32 v18, v77, v18, vcc_lo
	v_cndmask_b32_e64 v19, 1, v72, s0
	v_cmp_ne_u32_e64 s0, 2, v16
	v_cmp_ne_u32_e64 s13, 0, v18
	v_cndmask_b32_e32 v19, v72, v19, vcc_lo
	v_cndmask_b32_e64 v20, 1, v76, s0
	v_cmp_ne_u32_e64 s0, 3, v16
	v_cndmask_b32_e32 v20, v76, v20, vcc_lo
	v_cndmask_b32_e64 v21, 1, v75, s0
	v_cmp_ne_u32_e64 s0, 4, v16
	v_cmp_ne_u32_e64 s12, 0, v20
	v_cndmask_b32_e32 v21, v75, v21, vcc_lo
	v_cndmask_b32_e64 v17, 1, v74, s0
	v_cmp_ne_u32_e64 s0, 5, v16
	v_cmp_ne_u32_e64 s11, 0, v21
	v_cndmask_b32_e32 v17, v74, v17, vcc_lo
	v_cndmask_b32_e64 v22, 1, v73, s0
	v_cmp_eq_u32_e64 s0, 0, v15
	v_cmp_ne_u32_e64 s10, 0, v17
	v_cndmask_b32_e32 v22, v73, v22, vcc_lo
	v_cndmask_b32_e64 v23, 1, 2, s0
	v_cmp_eq_u32_e64 s0, 0, v18
	v_cmp_ne_u32_e64 s9, 0, v22
	v_cndmask_b32_e64 v24, 1, 2, s0
	v_cmp_ne_u32_e64 s0, 6, v16
	v_and_b32_e32 v23, v24, v23
	v_cndmask_b32_e64 v25, 1, v71, s0
	v_cmp_eq_u32_e64 s0, 0, v20
	v_cndmask_b32_e32 v25, v71, v25, vcc_lo
	v_cndmask_b32_e64 v24, 1, 2, s0
	v_cmp_ne_u32_e64 s0, 7, v16
	v_cmp_ne_u32_e64 s8, 0, v25
	v_and_b32_e32 v23, v23, v24
	v_cndmask_b32_e64 v26, 1, v70, s0
	v_cmp_ne_u32_e64 s0, 8, v16
	v_cndmask_b32_e32 v26, v70, v26, vcc_lo
	v_cndmask_b32_e64 v27, 1, v69, s0
	v_cmp_eq_u32_e64 s0, 0, v21
	v_cmp_ne_u32_e64 s7, 0, v26
	v_cndmask_b32_e32 v27, v69, v27, vcc_lo
	v_cndmask_b32_e64 v24, 1, 2, s0
	v_cmp_ne_u32_e64 s0, 9, v16
	v_cmp_ne_u32_e64 s6, 0, v27
	v_and_b32_e32 v23, v23, v24
	v_cndmask_b32_e64 v28, 1, v68, s0
	v_cmp_eq_u32_e64 s0, 0, v17
	v_cndmask_b32_e32 v28, v68, v28, vcc_lo
	v_cndmask_b32_e64 v24, 1, 2, s0
	v_cmp_ne_u32_e64 s0, 10, v16
	v_cmp_ne_u32_e64 s5, 0, v28
	v_and_b32_e32 v23, v23, v24
	v_cndmask_b32_e64 v29, 1, v67, s0
	v_cmp_ne_u32_e64 s0, 12, v16
	v_cndmask_b32_e32 v29, v67, v29, vcc_lo
	v_cndmask_b32_e64 v30, 1, v65, s0
	v_cmp_eq_u32_e64 s0, 0, v22
	v_cmp_ne_u32_e64 s4, 0, v29
	v_cndmask_b32_e32 v30, v65, v30, vcc_lo
	v_cndmask_b32_e64 v24, 1, 2, s0
	v_cmp_ne_u32_e64 s0, 13, v16
	v_cmp_ne_u32_e64 s2, 0, v30
	v_and_b32_e32 v23, v23, v24
	v_cndmask_b32_e64 v31, 1, v64, s0
	v_cmp_eq_u32_e64 s0, 0, v25
	v_cndmask_b32_e32 v31, v64, v31, vcc_lo
	v_cndmask_b32_e64 v24, 1, 2, s0
	v_cmp_ne_u32_e64 s0, 11, v16
	v_cmp_ne_u32_e64 s1, 0, v31
	v_and_b32_e32 v23, v23, v24
	v_cndmask_b32_e64 v16, 1, v66, s0
	v_cmp_eq_u32_e64 s0, 0, v26
	v_cndmask_b32_e32 v16, v66, v16, vcc_lo
	v_cndmask_b32_e64 v24, 1, 2, s0
	v_cmp_eq_u32_e32 vcc_lo, 0, v27
	v_cmp_ne_u32_e64 s0, 0, v19
	v_cmp_ne_u32_e64 s3, 0, v16
	v_and_b32_e32 v23, v23, v24
	v_cndmask_b32_e64 v24, 1, 2, vcc_lo
	v_add_co_u32 v11, vcc_lo, s28, v11
	v_add_co_ci_u32_e64 v12, null, s29, v12, vcc_lo
	v_cmp_eq_u32_e32 vcc_lo, 0, v28
	v_and_b32_e32 v23, v23, v24
	v_cndmask_b32_e64 v24, 1, 2, vcc_lo
	v_add_co_u32 v11, vcc_lo, v11, v13
	v_add_co_ci_u32_e64 v12, null, v12, v14, vcc_lo
	v_lshlrev_b32_e32 v13, 2, v4
	v_cmp_eq_u32_e32 vcc_lo, 0, v29
	v_and_b32_e32 v14, v23, v24
	v_add_nc_u32_e32 v4, v3, v4
	v_cndmask_b32_e64 v23, 1, 2, vcc_lo
	v_add_co_u32 v13, vcc_lo, v11, v13
	v_add_co_ci_u32_e64 v24, null, 0, v12, vcc_lo
	v_cmp_eq_u32_e32 vcc_lo, 0, v16
	v_and_b32_e32 v23, v14, v23
	v_cndmask_b32_e64 v32, 1, 2, vcc_lo
	v_add_co_u32 v13, vcc_lo, v13, -4
	v_add_co_ci_u32_e64 v14, null, -1, v24, vcc_lo
	v_cmp_eq_u32_e32 vcc_lo, 0, v30
	v_and_b32_e32 v23, v23, v32
	v_cndmask_b32_e64 v24, 1, 2, vcc_lo
	v_cmp_eq_u32_e32 vcc_lo, 0, v31
	v_and_b32_e32 v15, v23, v24
	v_cndmask_b32_e64 v18, 1, 2, vcc_lo
	;; [unrolled: 3-line block ×3, first 2 shown]
	v_cmp_gt_u32_e32 vcc_lo, 0x100, v2
	v_and_b32_e32 v15, v15, v17
	v_cmp_gt_i16_e64 s15, 2, v15
	s_cbranch_vccnz .LBB19_147
; %bb.144:
	s_and_b32 vcc_lo, exec_lo, s16
	s_cbranch_vccnz .LBB19_153
.LBB19_145:
	v_cmp_eq_u32_e32 vcc_lo, 0xff, v0
	s_and_b32 s0, vcc_lo, s23
	s_and_saveexec_b32 s1, s0
	s_cbranch_execnz .LBB19_162
.LBB19_146:
	s_endpgm
.LBB19_147:
	s_and_saveexec_b32 s16, s15
	s_cbranch_execz .LBB19_152
; %bb.148:
	s_mov_b32 s17, 0
	s_mov_b32 s15, exec_lo
	v_cmpx_ne_u16_e32 1, v15
	s_xor_b32 s15, exec_lo, s15
	s_cbranch_execnz .LBB19_198
; %bb.149:
	s_andn2_saveexec_b32 s15, s15
	s_cbranch_execnz .LBB19_214
.LBB19_150:
	s_or_b32 exec_lo, exec_lo, s15
	s_and_b32 exec_lo, exec_lo, s17
	s_cbranch_execz .LBB19_152
.LBB19_151:
	v_sub_nc_u32_e32 v16, v7, v4
	v_mov_b32_e32 v17, 0
	v_lshlrev_b64 v[16:17], 2, v[16:17]
	v_add_co_u32 v16, vcc_lo, v13, v16
	v_add_co_ci_u32_e64 v17, null, v14, v17, vcc_lo
	global_store_dword v[16:17], v8, off
.LBB19_152:
	s_or_b32 exec_lo, exec_lo, s16
	s_branch .LBB19_145
.LBB19_153:
	s_mov_b32 s15, exec_lo
	v_cmpx_gt_i16_e32 2, v15
	s_cbranch_execz .LBB19_158
; %bb.154:
	s_mov_b32 s17, 0
	s_mov_b32 s16, exec_lo
	v_cmpx_ne_u16_e32 1, v15
	s_xor_b32 s16, exec_lo, s16
	s_cbranch_execnz .LBB19_215
; %bb.155:
	s_andn2_saveexec_b32 s0, s16
	s_cbranch_execnz .LBB19_231
.LBB19_156:
	s_or_b32 exec_lo, exec_lo, s0
	s_and_b32 exec_lo, exec_lo, s17
.LBB19_157:
	v_sub_nc_u32_e32 v4, v7, v4
	v_lshlrev_b32_e32 v4, 2, v4
	ds_write_b32 v4, v8
.LBB19_158:
	s_or_b32 exec_lo, exec_lo, s15
	s_mov_b32 s1, exec_lo
	s_waitcnt lgkmcnt(0)
	s_waitcnt_vscnt null, 0x0
	s_barrier
	buffer_gl0_inv
	v_cmpx_lt_u32_e64 v0, v2
	s_cbranch_execz .LBB19_161
; %bb.159:
	v_lshlrev_b32_e32 v6, 2, v0
	v_mov_b32_e32 v5, 0
	v_mov_b32_e32 v4, v0
	s_mov_b32 s2, 0
	.p2align	6
.LBB19_160:                             ; =>This Inner Loop Header: Depth=1
	ds_read_b32 v15, v6
	v_lshlrev_b64 v[7:8], 2, v[4:5]
	v_add_nc_u32_e32 v4, 0x100, v4
	v_add_nc_u32_e32 v6, 0x400, v6
	v_cmp_ge_u32_e32 vcc_lo, v4, v2
	v_add_co_u32 v7, s0, v13, v7
	v_add_co_ci_u32_e64 v8, null, v14, v8, s0
	s_or_b32 s2, vcc_lo, s2
	s_waitcnt lgkmcnt(0)
	global_store_dword v[7:8], v15, off
	s_andn2_b32 exec_lo, exec_lo, s2
	s_cbranch_execnz .LBB19_160
.LBB19_161:
	s_or_b32 exec_lo, exec_lo, s1
	v_cmp_eq_u32_e32 vcc_lo, 0xff, v0
	s_and_b32 s0, vcc_lo, s23
	s_and_saveexec_b32 s1, s0
	s_cbranch_execz .LBB19_146
.LBB19_162:
	v_add_co_u32 v0, s0, v1, v3
	v_add_co_ci_u32_e64 v4, null, 0, 0, s0
	v_mov_b32_e32 v2, 0
	v_add_co_u32 v3, vcc_lo, v0, v9
	v_add_co_ci_u32_e64 v4, null, v4, v10, vcc_lo
	s_cmpk_lg_i32 s33, 0xf00
	global_store_dwordx2 v2, v[3:4], s[30:31]
	s_cbranch_scc1 .LBB19_146
; %bb.163:
	v_lshlrev_b64 v[0:1], 2, v[1:2]
	v_add_co_u32 v0, vcc_lo, v11, v0
	v_add_co_ci_u32_e64 v1, null, v12, v1, vcc_lo
	global_store_dword v[0:1], v80, off offset:-4
	s_endpgm
.LBB19_164:
	s_and_saveexec_b32 s17, s14
	s_cbranch_execnz .LBB19_232
; %bb.165:
	s_or_b32 exec_lo, exec_lo, s17
	s_and_saveexec_b32 s17, s13
	s_cbranch_execnz .LBB19_233
.LBB19_166:
	s_or_b32 exec_lo, exec_lo, s17
	s_and_saveexec_b32 s17, s12
	s_cbranch_execnz .LBB19_234
.LBB19_167:
	s_or_b32 exec_lo, exec_lo, s17
	s_and_saveexec_b32 s17, s11
	s_cbranch_execnz .LBB19_235
.LBB19_168:
	s_or_b32 exec_lo, exec_lo, s17
	s_and_saveexec_b32 s17, s10
	s_cbranch_execnz .LBB19_236
.LBB19_169:
	s_or_b32 exec_lo, exec_lo, s17
	s_and_saveexec_b32 s17, s9
	s_cbranch_execnz .LBB19_237
.LBB19_170:
	s_or_b32 exec_lo, exec_lo, s17
	s_and_saveexec_b32 s17, s7
	s_cbranch_execnz .LBB19_238
.LBB19_171:
	s_or_b32 exec_lo, exec_lo, s17
	s_and_saveexec_b32 s17, s5
	s_cbranch_execnz .LBB19_239
.LBB19_172:
	s_or_b32 exec_lo, exec_lo, s17
	s_and_saveexec_b32 s17, s8
	s_cbranch_execnz .LBB19_240
.LBB19_173:
	s_or_b32 exec_lo, exec_lo, s17
	s_and_saveexec_b32 s17, s6
	s_cbranch_execnz .LBB19_241
.LBB19_174:
	s_or_b32 exec_lo, exec_lo, s17
	s_and_saveexec_b32 s17, s4
	s_cbranch_execnz .LBB19_242
.LBB19_175:
	s_or_b32 exec_lo, exec_lo, s17
	s_and_saveexec_b32 s17, s3
	s_cbranch_execnz .LBB19_243
.LBB19_176:
	s_or_b32 exec_lo, exec_lo, s17
	s_and_saveexec_b32 s17, s2
	s_cbranch_execnz .LBB19_244
.LBB19_177:
	s_or_b32 exec_lo, exec_lo, s17
	s_and_saveexec_b32 s17, s1
	s_cbranch_execz .LBB19_179
.LBB19_178:
	v_sub_nc_u32_e32 v31, v39, v3
	v_mov_b32_e32 v32, 0
	v_lshlrev_b64 v[31:32], 2, v[31:32]
	v_add_co_u32 v31, vcc_lo, v2, v31
	v_add_co_ci_u32_e64 v32, null, v4, v32, vcc_lo
	global_store_dword v[31:32], v18, off
.LBB19_179:
	s_or_b32 exec_lo, exec_lo, s17
	s_and_b32 s17, s0, exec_lo
	s_andn2_saveexec_b32 s15, s15
	s_cbranch_execz .LBB19_130
.LBB19_180:
	v_sub_nc_u32_e32 v31, v57, v3
	v_mov_b32_e32 v32, 0
	s_or_b32 s17, s17, exec_lo
	v_lshlrev_b64 v[33:34], 2, v[31:32]
	v_sub_nc_u32_e32 v31, v61, v3
	v_lshlrev_b64 v[35:36], 2, v[31:32]
	v_sub_nc_u32_e32 v31, v59, v3
	v_add_co_u32 v33, vcc_lo, v2, v33
	v_add_co_ci_u32_e64 v34, null, v4, v34, vcc_lo
	v_lshlrev_b64 v[81:82], 2, v[31:32]
	v_sub_nc_u32_e32 v31, v55, v3
	v_add_co_u32 v35, vcc_lo, v2, v35
	v_add_co_ci_u32_e64 v36, null, v4, v36, vcc_lo
	global_store_dword v[33:34], v29, off
	v_lshlrev_b64 v[33:34], 2, v[31:32]
	v_sub_nc_u32_e32 v31, v51, v3
	global_store_dword v[35:36], v30, off
	v_add_co_u32 v35, vcc_lo, v2, v81
	v_add_co_ci_u32_e64 v36, null, v4, v82, vcc_lo
	v_lshlrev_b64 v[81:82], 2, v[31:32]
	v_sub_nc_u32_e32 v31, v47, v3
	v_add_co_u32 v33, vcc_lo, v2, v33
	v_add_co_ci_u32_e64 v34, null, v4, v34, vcc_lo
	v_lshlrev_b64 v[83:84], 2, v[31:32]
	v_sub_nc_u32_e32 v31, v45, v3
	;; [unrolled: 4-line block ×3, first 2 shown]
	v_add_co_u32 v83, vcc_lo, v2, v83
	v_add_co_ci_u32_e64 v84, null, v4, v84, vcc_lo
	global_store_dword v[35:36], v27, off
	global_store_dword v[33:34], v28, off
	;; [unrolled: 1-line block ×4, first 2 shown]
	v_lshlrev_b64 v[33:34], 2, v[31:32]
	v_sub_nc_u32_e32 v31, v53, v3
	v_add_co_u32 v35, vcc_lo, v2, v85
	v_add_co_ci_u32_e64 v36, null, v4, v86, vcc_lo
	v_lshlrev_b64 v[81:82], 2, v[31:32]
	v_sub_nc_u32_e32 v31, v37, v3
	v_add_co_u32 v33, vcc_lo, v2, v33
	v_add_co_ci_u32_e64 v34, null, v4, v34, vcc_lo
	;; [unrolled: 4-line block ×4, first 2 shown]
	global_store_dword v[35:36], v23, off
	global_store_dword v[33:34], v24, off
	;; [unrolled: 1-line block ×4, first 2 shown]
	v_lshlrev_b64 v[33:34], 2, v[31:32]
	v_sub_nc_u32_e32 v31, v43, v3
	v_add_co_u32 v35, vcc_lo, v2, v85
	v_add_co_ci_u32_e64 v36, null, v4, v86, vcc_lo
	v_lshlrev_b64 v[81:82], 2, v[31:32]
	v_sub_nc_u32_e32 v31, v39, v3
	v_add_co_u32 v33, vcc_lo, v2, v33
	v_add_co_ci_u32_e64 v34, null, v4, v34, vcc_lo
	v_lshlrev_b64 v[31:32], 2, v[31:32]
	v_add_co_u32 v81, vcc_lo, v2, v81
	v_add_co_ci_u32_e64 v82, null, v4, v82, vcc_lo
	global_store_dword v[35:36], v19, off
	global_store_dword v[33:34], v20, off
	;; [unrolled: 1-line block ×3, first 2 shown]
	v_add_co_u32 v31, vcc_lo, v2, v31
	v_add_co_ci_u32_e64 v32, null, v4, v32, vcc_lo
	global_store_dword v[31:32], v18, off
	s_or_b32 exec_lo, exec_lo, s15
	s_and_b32 exec_lo, exec_lo, s17
	s_cbranch_execnz .LBB19_131
	s_branch .LBB19_132
.LBB19_181:
	s_and_saveexec_b32 s17, s14
	s_cbranch_execnz .LBB19_245
; %bb.182:
	s_or_b32 exec_lo, exec_lo, s17
	s_and_saveexec_b32 s14, s13
	s_cbranch_execnz .LBB19_246
.LBB19_183:
	s_or_b32 exec_lo, exec_lo, s14
	s_and_saveexec_b32 s13, s12
	s_cbranch_execnz .LBB19_247
.LBB19_184:
	s_or_b32 exec_lo, exec_lo, s13
	s_and_saveexec_b32 s12, s11
	s_cbranch_execnz .LBB19_248
.LBB19_185:
	s_or_b32 exec_lo, exec_lo, s12
	s_and_saveexec_b32 s11, s10
	s_cbranch_execnz .LBB19_249
.LBB19_186:
	s_or_b32 exec_lo, exec_lo, s11
	s_and_saveexec_b32 s10, s9
	s_cbranch_execnz .LBB19_250
.LBB19_187:
	s_or_b32 exec_lo, exec_lo, s10
	s_and_saveexec_b32 s9, s7
	s_cbranch_execnz .LBB19_251
.LBB19_188:
	s_or_b32 exec_lo, exec_lo, s9
	s_and_saveexec_b32 s7, s5
	s_cbranch_execnz .LBB19_252
.LBB19_189:
	s_or_b32 exec_lo, exec_lo, s7
	s_and_saveexec_b32 s5, s8
	s_cbranch_execnz .LBB19_253
.LBB19_190:
	s_or_b32 exec_lo, exec_lo, s5
	s_and_saveexec_b32 s5, s6
	s_cbranch_execnz .LBB19_254
.LBB19_191:
	s_or_b32 exec_lo, exec_lo, s5
	s_and_saveexec_b32 s5, s4
	s_cbranch_execnz .LBB19_255
.LBB19_192:
	s_or_b32 exec_lo, exec_lo, s5
	s_and_saveexec_b32 s4, s3
	s_cbranch_execnz .LBB19_256
.LBB19_193:
	s_or_b32 exec_lo, exec_lo, s4
	s_and_saveexec_b32 s3, s2
	s_cbranch_execnz .LBB19_257
.LBB19_194:
	s_or_b32 exec_lo, exec_lo, s3
	s_and_saveexec_b32 s2, s1
.LBB19_195:
	v_sub_nc_u32_e32 v15, v39, v3
	v_lshlrev_b32_e32 v15, 2, v15
	ds_write_b32 v15, v18
.LBB19_196:
	s_or_b32 exec_lo, exec_lo, s2
	s_and_b32 s17, s0, exec_lo
                                        ; implicit-def: $vgpr29
                                        ; implicit-def: $vgpr27
                                        ; implicit-def: $vgpr25
                                        ; implicit-def: $vgpr23
                                        ; implicit-def: $vgpr21
                                        ; implicit-def: $vgpr19
                                        ; implicit-def: $vgpr17
	s_andn2_saveexec_b32 s0, s16
	s_cbranch_execz .LBB19_137
.LBB19_197:
	v_sub_nc_u32_e32 v15, v57, v3
	v_sub_nc_u32_e32 v16, v61, v3
	;; [unrolled: 1-line block ×4, first 2 shown]
	s_or_b32 s17, s17, exec_lo
	v_lshlrev_b32_e32 v15, 2, v15
	v_lshlrev_b32_e32 v16, 2, v16
	;; [unrolled: 1-line block ×4, first 2 shown]
	ds_write_b32 v15, v29
	ds_write_b32 v16, v30
	;; [unrolled: 1-line block ×3, first 2 shown]
	v_sub_nc_u32_e32 v15, v51, v3
	v_sub_nc_u32_e32 v16, v47, v3
	;; [unrolled: 1-line block ×3, first 2 shown]
	ds_write_b32 v32, v28
	v_sub_nc_u32_e32 v28, v49, v3
	v_lshlrev_b32_e32 v15, 2, v15
	v_sub_nc_u32_e32 v29, v53, v3
	v_lshlrev_b32_e32 v16, 2, v16
	v_lshlrev_b32_e32 v27, 2, v27
	;; [unrolled: 1-line block ×3, first 2 shown]
	ds_write_b32 v15, v25
	v_lshlrev_b32_e32 v15, 2, v29
	ds_write_b32 v16, v26
	ds_write_b32 v27, v23
	;; [unrolled: 1-line block ×3, first 2 shown]
	v_sub_nc_u32_e32 v16, v37, v3
	v_sub_nc_u32_e32 v24, v39, v3
	;; [unrolled: 1-line block ×3, first 2 shown]
	ds_write_b32 v15, v21
	v_sub_nc_u32_e32 v15, v41, v3
	v_lshlrev_b32_e32 v16, 2, v16
	v_sub_nc_u32_e32 v21, v5, v3
	v_lshlrev_b32_e32 v23, 2, v23
	v_lshlrev_b32_e32 v15, 2, v15
	ds_write_b32 v16, v22
	v_lshlrev_b32_e32 v16, 2, v24
	v_lshlrev_b32_e32 v21, 2, v21
	ds_write_b32 v15, v19
	ds_write_b32 v21, v20
	;; [unrolled: 1-line block ×4, first 2 shown]
	s_or_b32 exec_lo, exec_lo, s0
	s_and_b32 exec_lo, exec_lo, s17
	s_cbranch_execnz .LBB19_138
	s_branch .LBB19_139
.LBB19_198:
	s_and_saveexec_b32 s17, s14
	s_cbranch_execnz .LBB19_258
; %bb.199:
	s_or_b32 exec_lo, exec_lo, s17
	s_and_saveexec_b32 s17, s13
	s_cbranch_execnz .LBB19_259
.LBB19_200:
	s_or_b32 exec_lo, exec_lo, s17
	s_and_saveexec_b32 s17, s12
	s_cbranch_execnz .LBB19_260
.LBB19_201:
	s_or_b32 exec_lo, exec_lo, s17
	s_and_saveexec_b32 s17, s11
	s_cbranch_execnz .LBB19_261
.LBB19_202:
	s_or_b32 exec_lo, exec_lo, s17
	s_and_saveexec_b32 s17, s10
	s_cbranch_execnz .LBB19_262
.LBB19_203:
	s_or_b32 exec_lo, exec_lo, s17
	s_and_saveexec_b32 s17, s9
	s_cbranch_execnz .LBB19_263
.LBB19_204:
	s_or_b32 exec_lo, exec_lo, s17
	s_and_saveexec_b32 s17, s8
	s_cbranch_execnz .LBB19_264
.LBB19_205:
	s_or_b32 exec_lo, exec_lo, s17
	s_and_saveexec_b32 s17, s7
	s_cbranch_execnz .LBB19_265
.LBB19_206:
	s_or_b32 exec_lo, exec_lo, s17
	s_and_saveexec_b32 s17, s6
	s_cbranch_execnz .LBB19_266
.LBB19_207:
	s_or_b32 exec_lo, exec_lo, s17
	s_and_saveexec_b32 s17, s5
	s_cbranch_execnz .LBB19_267
.LBB19_208:
	s_or_b32 exec_lo, exec_lo, s17
	s_and_saveexec_b32 s17, s4
	s_cbranch_execnz .LBB19_268
.LBB19_209:
	s_or_b32 exec_lo, exec_lo, s17
	s_and_saveexec_b32 s17, s3
	s_cbranch_execnz .LBB19_269
.LBB19_210:
	s_or_b32 exec_lo, exec_lo, s17
	s_and_saveexec_b32 s17, s2
	s_cbranch_execnz .LBB19_270
.LBB19_211:
	s_or_b32 exec_lo, exec_lo, s17
	s_and_saveexec_b32 s17, s1
	s_cbranch_execz .LBB19_213
.LBB19_212:
	v_sub_nc_u32_e32 v16, v39, v4
	v_mov_b32_e32 v17, 0
	v_lshlrev_b64 v[16:17], 2, v[16:17]
	v_add_co_u32 v16, vcc_lo, v13, v16
	v_add_co_ci_u32_e64 v17, null, v14, v17, vcc_lo
	global_store_dword v[16:17], v40, off
.LBB19_213:
	s_or_b32 exec_lo, exec_lo, s17
	s_and_b32 s17, s0, exec_lo
	s_andn2_saveexec_b32 s15, s15
	s_cbranch_execz .LBB19_150
.LBB19_214:
	v_sub_nc_u32_e32 v16, v57, v4
	v_mov_b32_e32 v17, 0
	s_or_b32 s17, s17, exec_lo
	v_lshlrev_b64 v[18:19], 2, v[16:17]
	v_sub_nc_u32_e32 v16, v61, v4
	v_lshlrev_b64 v[20:21], 2, v[16:17]
	v_sub_nc_u32_e32 v16, v59, v4
	v_add_co_u32 v18, vcc_lo, v13, v18
	v_add_co_ci_u32_e64 v19, null, v14, v19, vcc_lo
	v_lshlrev_b64 v[22:23], 2, v[16:17]
	v_sub_nc_u32_e32 v16, v55, v4
	v_add_co_u32 v20, vcc_lo, v13, v20
	v_add_co_ci_u32_e64 v21, null, v14, v21, vcc_lo
	global_store_dword v[18:19], v58, off
	v_lshlrev_b64 v[18:19], 2, v[16:17]
	v_sub_nc_u32_e32 v16, v51, v4
	global_store_dword v[20:21], v62, off
	v_add_co_u32 v20, vcc_lo, v13, v22
	v_add_co_ci_u32_e64 v21, null, v14, v23, vcc_lo
	v_lshlrev_b64 v[22:23], 2, v[16:17]
	v_sub_nc_u32_e32 v16, v47, v4
	v_add_co_u32 v18, vcc_lo, v13, v18
	v_add_co_ci_u32_e64 v19, null, v14, v19, vcc_lo
	v_lshlrev_b64 v[24:25], 2, v[16:17]
	v_sub_nc_u32_e32 v16, v45, v4
	v_add_co_u32 v22, vcc_lo, v13, v22
	v_add_co_ci_u32_e64 v23, null, v14, v23, vcc_lo
	v_lshlrev_b64 v[26:27], 2, v[16:17]
	v_sub_nc_u32_e32 v16, v49, v4
	v_add_co_u32 v24, vcc_lo, v13, v24
	v_add_co_ci_u32_e64 v25, null, v14, v25, vcc_lo
	global_store_dword v[20:21], v60, off
	global_store_dword v[18:19], v56, off
	;; [unrolled: 1-line block ×4, first 2 shown]
	v_lshlrev_b64 v[18:19], 2, v[16:17]
	v_sub_nc_u32_e32 v16, v53, v4
	v_add_co_u32 v20, vcc_lo, v13, v26
	v_add_co_ci_u32_e64 v21, null, v14, v27, vcc_lo
	v_lshlrev_b64 v[22:23], 2, v[16:17]
	v_sub_nc_u32_e32 v16, v37, v4
	v_add_co_u32 v18, vcc_lo, v13, v18
	v_add_co_ci_u32_e64 v19, null, v14, v19, vcc_lo
	;; [unrolled: 4-line block ×4, first 2 shown]
	global_store_dword v[20:21], v46, off
	global_store_dword v[18:19], v50, off
	;; [unrolled: 1-line block ×4, first 2 shown]
	v_lshlrev_b64 v[18:19], 2, v[16:17]
	v_sub_nc_u32_e32 v16, v43, v4
	v_add_co_u32 v20, vcc_lo, v13, v26
	v_add_co_ci_u32_e64 v21, null, v14, v27, vcc_lo
	v_lshlrev_b64 v[22:23], 2, v[16:17]
	v_sub_nc_u32_e32 v16, v39, v4
	v_add_co_u32 v18, vcc_lo, v13, v18
	v_add_co_ci_u32_e64 v19, null, v14, v19, vcc_lo
	v_lshlrev_b64 v[16:17], 2, v[16:17]
	v_add_co_u32 v22, vcc_lo, v13, v22
	v_add_co_ci_u32_e64 v23, null, v14, v23, vcc_lo
	global_store_dword v[20:21], v42, off
	global_store_dword v[18:19], v6, off
	;; [unrolled: 1-line block ×3, first 2 shown]
	v_add_co_u32 v16, vcc_lo, v13, v16
	v_add_co_ci_u32_e64 v17, null, v14, v17, vcc_lo
	global_store_dword v[16:17], v40, off
	s_or_b32 exec_lo, exec_lo, s15
	s_and_b32 exec_lo, exec_lo, s17
	s_cbranch_execnz .LBB19_151
	s_branch .LBB19_152
.LBB19_215:
	s_and_saveexec_b32 s17, s14
	s_cbranch_execnz .LBB19_271
; %bb.216:
	s_or_b32 exec_lo, exec_lo, s17
	s_and_saveexec_b32 s14, s13
	s_cbranch_execnz .LBB19_272
.LBB19_217:
	s_or_b32 exec_lo, exec_lo, s14
	s_and_saveexec_b32 s13, s12
	s_cbranch_execnz .LBB19_273
.LBB19_218:
	s_or_b32 exec_lo, exec_lo, s13
	s_and_saveexec_b32 s12, s11
	s_cbranch_execnz .LBB19_274
.LBB19_219:
	s_or_b32 exec_lo, exec_lo, s12
	s_and_saveexec_b32 s11, s10
	s_cbranch_execnz .LBB19_275
.LBB19_220:
	s_or_b32 exec_lo, exec_lo, s11
	s_and_saveexec_b32 s10, s9
	s_cbranch_execnz .LBB19_276
.LBB19_221:
	s_or_b32 exec_lo, exec_lo, s10
	s_and_saveexec_b32 s9, s8
	s_cbranch_execnz .LBB19_277
.LBB19_222:
	s_or_b32 exec_lo, exec_lo, s9
	s_and_saveexec_b32 s8, s7
	s_cbranch_execnz .LBB19_278
.LBB19_223:
	s_or_b32 exec_lo, exec_lo, s8
	s_and_saveexec_b32 s7, s6
	s_cbranch_execnz .LBB19_279
.LBB19_224:
	s_or_b32 exec_lo, exec_lo, s7
	s_and_saveexec_b32 s6, s5
	s_cbranch_execnz .LBB19_280
.LBB19_225:
	s_or_b32 exec_lo, exec_lo, s6
	s_and_saveexec_b32 s5, s4
	s_cbranch_execnz .LBB19_281
.LBB19_226:
	s_or_b32 exec_lo, exec_lo, s5
	s_and_saveexec_b32 s4, s3
	s_cbranch_execnz .LBB19_282
.LBB19_227:
	s_or_b32 exec_lo, exec_lo, s4
	s_and_saveexec_b32 s3, s2
	s_cbranch_execnz .LBB19_283
.LBB19_228:
	s_or_b32 exec_lo, exec_lo, s3
	s_and_saveexec_b32 s2, s1
.LBB19_229:
	v_sub_nc_u32_e32 v5, v39, v4
	v_lshlrev_b32_e32 v5, 2, v5
	ds_write_b32 v5, v40
.LBB19_230:
	s_or_b32 exec_lo, exec_lo, s2
	s_and_b32 s17, s0, exec_lo
                                        ; implicit-def: $vgpr39_vgpr40
                                        ; implicit-def: $vgpr43_vgpr44
                                        ; implicit-def: $vgpr5_vgpr6
                                        ; implicit-def: $vgpr57_vgpr58
                                        ; implicit-def: $vgpr61_vgpr62
                                        ; implicit-def: $vgpr59_vgpr60
                                        ; implicit-def: $vgpr55_vgpr56
                                        ; implicit-def: $vgpr51_vgpr52
                                        ; implicit-def: $vgpr47_vgpr48
                                        ; implicit-def: $vgpr45_vgpr46
                                        ; implicit-def: $vgpr49_vgpr50
                                        ; implicit-def: $vgpr53_vgpr54
                                        ; implicit-def: $vgpr37_vgpr38
                                        ; implicit-def: $vgpr41_vgpr42
	s_andn2_saveexec_b32 s0, s16
	s_cbranch_execz .LBB19_156
.LBB19_231:
	v_sub_nc_u32_e32 v15, v57, v4
	v_sub_nc_u32_e32 v16, v61, v4
	;; [unrolled: 1-line block ×5, first 2 shown]
	v_lshlrev_b32_e32 v15, 2, v15
	v_lshlrev_b32_e32 v16, 2, v16
	;; [unrolled: 1-line block ×4, first 2 shown]
	v_sub_nc_u32_e32 v5, v5, v4
	ds_write_b32 v15, v58
	ds_write_b32 v16, v62
	;; [unrolled: 1-line block ×3, first 2 shown]
	v_sub_nc_u32_e32 v15, v51, v4
	v_sub_nc_u32_e32 v16, v47, v4
	;; [unrolled: 1-line block ×3, first 2 shown]
	ds_write_b32 v18, v56
	v_sub_nc_u32_e32 v18, v49, v4
	v_lshlrev_b32_e32 v15, 2, v15
	v_lshlrev_b32_e32 v16, 2, v16
	;; [unrolled: 1-line block ×5, first 2 shown]
	ds_write_b32 v15, v52
	v_lshlrev_b32_e32 v15, 2, v19
	ds_write_b32 v16, v48
	ds_write_b32 v17, v46
	;; [unrolled: 1-line block ×3, first 2 shown]
	v_sub_nc_u32_e32 v16, v37, v4
	v_sub_nc_u32_e32 v18, v39, v4
	;; [unrolled: 1-line block ×3, first 2 shown]
	ds_write_b32 v15, v54
	v_sub_nc_u32_e32 v15, v41, v4
	v_lshlrev_b32_e32 v16, 2, v16
	s_or_b32 s17, s17, exec_lo
	v_lshlrev_b32_e32 v17, 2, v17
	v_lshlrev_b32_e32 v15, 2, v15
	ds_write_b32 v16, v38
	v_lshlrev_b32_e32 v16, 2, v18
	ds_write_b32 v15, v42
	ds_write_b32 v5, v6
	;; [unrolled: 1-line block ×4, first 2 shown]
	s_or_b32 exec_lo, exec_lo, s0
	s_and_b32 exec_lo, exec_lo, s17
	s_cbranch_execnz .LBB19_157
	s_branch .LBB19_158
.LBB19_232:
	v_sub_nc_u32_e32 v31, v57, v3
	v_mov_b32_e32 v32, 0
	v_lshlrev_b64 v[31:32], 2, v[31:32]
	v_add_co_u32 v31, vcc_lo, v2, v31
	v_add_co_ci_u32_e64 v32, null, v4, v32, vcc_lo
	global_store_dword v[31:32], v29, off
	s_or_b32 exec_lo, exec_lo, s17
	s_and_saveexec_b32 s17, s13
	s_cbranch_execz .LBB19_166
.LBB19_233:
	v_sub_nc_u32_e32 v31, v61, v3
	v_mov_b32_e32 v32, 0
	v_lshlrev_b64 v[31:32], 2, v[31:32]
	v_add_co_u32 v31, vcc_lo, v2, v31
	v_add_co_ci_u32_e64 v32, null, v4, v32, vcc_lo
	global_store_dword v[31:32], v30, off
	s_or_b32 exec_lo, exec_lo, s17
	s_and_saveexec_b32 s17, s12
	s_cbranch_execz .LBB19_167
.LBB19_234:
	v_sub_nc_u32_e32 v31, v59, v3
	v_mov_b32_e32 v32, 0
	v_lshlrev_b64 v[31:32], 2, v[31:32]
	v_add_co_u32 v31, vcc_lo, v2, v31
	v_add_co_ci_u32_e64 v32, null, v4, v32, vcc_lo
	global_store_dword v[31:32], v27, off
	s_or_b32 exec_lo, exec_lo, s17
	s_and_saveexec_b32 s17, s11
	s_cbranch_execz .LBB19_168
.LBB19_235:
	v_sub_nc_u32_e32 v31, v55, v3
	v_mov_b32_e32 v32, 0
	v_lshlrev_b64 v[31:32], 2, v[31:32]
	v_add_co_u32 v31, vcc_lo, v2, v31
	v_add_co_ci_u32_e64 v32, null, v4, v32, vcc_lo
	global_store_dword v[31:32], v28, off
	s_or_b32 exec_lo, exec_lo, s17
	s_and_saveexec_b32 s17, s10
	s_cbranch_execz .LBB19_169
.LBB19_236:
	v_sub_nc_u32_e32 v31, v51, v3
	v_mov_b32_e32 v32, 0
	v_lshlrev_b64 v[31:32], 2, v[31:32]
	v_add_co_u32 v31, vcc_lo, v2, v31
	v_add_co_ci_u32_e64 v32, null, v4, v32, vcc_lo
	global_store_dword v[31:32], v25, off
	s_or_b32 exec_lo, exec_lo, s17
	s_and_saveexec_b32 s17, s9
	s_cbranch_execz .LBB19_170
.LBB19_237:
	v_sub_nc_u32_e32 v31, v47, v3
	v_mov_b32_e32 v32, 0
	v_lshlrev_b64 v[31:32], 2, v[31:32]
	v_add_co_u32 v31, vcc_lo, v2, v31
	v_add_co_ci_u32_e64 v32, null, v4, v32, vcc_lo
	global_store_dword v[31:32], v26, off
	s_or_b32 exec_lo, exec_lo, s17
	s_and_saveexec_b32 s17, s7
	s_cbranch_execz .LBB19_171
.LBB19_238:
	v_sub_nc_u32_e32 v31, v45, v3
	v_mov_b32_e32 v32, 0
	v_lshlrev_b64 v[31:32], 2, v[31:32]
	v_add_co_u32 v31, vcc_lo, v2, v31
	v_add_co_ci_u32_e64 v32, null, v4, v32, vcc_lo
	global_store_dword v[31:32], v23, off
	s_or_b32 exec_lo, exec_lo, s17
	s_and_saveexec_b32 s17, s5
	s_cbranch_execz .LBB19_172
.LBB19_239:
	v_sub_nc_u32_e32 v31, v49, v3
	v_mov_b32_e32 v32, 0
	v_lshlrev_b64 v[31:32], 2, v[31:32]
	v_add_co_u32 v31, vcc_lo, v2, v31
	v_add_co_ci_u32_e64 v32, null, v4, v32, vcc_lo
	global_store_dword v[31:32], v24, off
	s_or_b32 exec_lo, exec_lo, s17
	s_and_saveexec_b32 s17, s8
	s_cbranch_execz .LBB19_173
.LBB19_240:
	v_sub_nc_u32_e32 v31, v53, v3
	v_mov_b32_e32 v32, 0
	v_lshlrev_b64 v[31:32], 2, v[31:32]
	v_add_co_u32 v31, vcc_lo, v2, v31
	v_add_co_ci_u32_e64 v32, null, v4, v32, vcc_lo
	global_store_dword v[31:32], v21, off
	s_or_b32 exec_lo, exec_lo, s17
	s_and_saveexec_b32 s17, s6
	s_cbranch_execz .LBB19_174
.LBB19_241:
	v_sub_nc_u32_e32 v31, v37, v3
	v_mov_b32_e32 v32, 0
	v_lshlrev_b64 v[31:32], 2, v[31:32]
	v_add_co_u32 v31, vcc_lo, v2, v31
	v_add_co_ci_u32_e64 v32, null, v4, v32, vcc_lo
	global_store_dword v[31:32], v22, off
	s_or_b32 exec_lo, exec_lo, s17
	s_and_saveexec_b32 s17, s4
	s_cbranch_execz .LBB19_175
.LBB19_242:
	v_sub_nc_u32_e32 v31, v41, v3
	v_mov_b32_e32 v32, 0
	v_lshlrev_b64 v[31:32], 2, v[31:32]
	v_add_co_u32 v31, vcc_lo, v2, v31
	v_add_co_ci_u32_e64 v32, null, v4, v32, vcc_lo
	global_store_dword v[31:32], v19, off
	s_or_b32 exec_lo, exec_lo, s17
	s_and_saveexec_b32 s17, s3
	s_cbranch_execz .LBB19_176
.LBB19_243:
	v_sub_nc_u32_e32 v31, v5, v3
	v_mov_b32_e32 v32, 0
	v_lshlrev_b64 v[31:32], 2, v[31:32]
	v_add_co_u32 v31, vcc_lo, v2, v31
	v_add_co_ci_u32_e64 v32, null, v4, v32, vcc_lo
	global_store_dword v[31:32], v20, off
	s_or_b32 exec_lo, exec_lo, s17
	s_and_saveexec_b32 s17, s2
	s_cbranch_execz .LBB19_177
.LBB19_244:
	v_sub_nc_u32_e32 v31, v43, v3
	v_mov_b32_e32 v32, 0
	v_lshlrev_b64 v[31:32], 2, v[31:32]
	v_add_co_u32 v31, vcc_lo, v2, v31
	v_add_co_ci_u32_e64 v32, null, v4, v32, vcc_lo
	global_store_dword v[31:32], v17, off
	s_or_b32 exec_lo, exec_lo, s17
	s_and_saveexec_b32 s17, s1
	s_cbranch_execnz .LBB19_178
	s_branch .LBB19_179
.LBB19_245:
	v_sub_nc_u32_e32 v15, v57, v3
	v_lshlrev_b32_e32 v15, 2, v15
	ds_write_b32 v15, v29
	s_or_b32 exec_lo, exec_lo, s17
	s_and_saveexec_b32 s14, s13
	s_cbranch_execz .LBB19_183
.LBB19_246:
	v_sub_nc_u32_e32 v15, v61, v3
	v_lshlrev_b32_e32 v15, 2, v15
	ds_write_b32 v15, v30
	s_or_b32 exec_lo, exec_lo, s14
	s_and_saveexec_b32 s13, s12
	s_cbranch_execz .LBB19_184
.LBB19_247:
	v_sub_nc_u32_e32 v15, v59, v3
	v_lshlrev_b32_e32 v15, 2, v15
	ds_write_b32 v15, v27
	s_or_b32 exec_lo, exec_lo, s13
	s_and_saveexec_b32 s12, s11
	s_cbranch_execz .LBB19_185
.LBB19_248:
	v_sub_nc_u32_e32 v15, v55, v3
	v_lshlrev_b32_e32 v15, 2, v15
	ds_write_b32 v15, v28
	s_or_b32 exec_lo, exec_lo, s12
	s_and_saveexec_b32 s11, s10
	s_cbranch_execz .LBB19_186
.LBB19_249:
	v_sub_nc_u32_e32 v15, v51, v3
	v_lshlrev_b32_e32 v15, 2, v15
	ds_write_b32 v15, v25
	s_or_b32 exec_lo, exec_lo, s11
	s_and_saveexec_b32 s10, s9
	s_cbranch_execz .LBB19_187
.LBB19_250:
	v_sub_nc_u32_e32 v15, v47, v3
	v_lshlrev_b32_e32 v15, 2, v15
	ds_write_b32 v15, v26
	s_or_b32 exec_lo, exec_lo, s10
	s_and_saveexec_b32 s9, s7
	s_cbranch_execz .LBB19_188
.LBB19_251:
	v_sub_nc_u32_e32 v15, v45, v3
	v_lshlrev_b32_e32 v15, 2, v15
	ds_write_b32 v15, v23
	s_or_b32 exec_lo, exec_lo, s9
	s_and_saveexec_b32 s7, s5
	s_cbranch_execz .LBB19_189
.LBB19_252:
	v_sub_nc_u32_e32 v15, v49, v3
	v_lshlrev_b32_e32 v15, 2, v15
	ds_write_b32 v15, v24
	s_or_b32 exec_lo, exec_lo, s7
	s_and_saveexec_b32 s5, s8
	s_cbranch_execz .LBB19_190
.LBB19_253:
	v_sub_nc_u32_e32 v15, v53, v3
	v_lshlrev_b32_e32 v15, 2, v15
	ds_write_b32 v15, v21
	s_or_b32 exec_lo, exec_lo, s5
	s_and_saveexec_b32 s5, s6
	s_cbranch_execz .LBB19_191
.LBB19_254:
	v_sub_nc_u32_e32 v15, v37, v3
	v_lshlrev_b32_e32 v15, 2, v15
	ds_write_b32 v15, v22
	s_or_b32 exec_lo, exec_lo, s5
	s_and_saveexec_b32 s5, s4
	s_cbranch_execz .LBB19_192
.LBB19_255:
	v_sub_nc_u32_e32 v15, v41, v3
	v_lshlrev_b32_e32 v15, 2, v15
	ds_write_b32 v15, v19
	s_or_b32 exec_lo, exec_lo, s5
	s_and_saveexec_b32 s4, s3
	s_cbranch_execz .LBB19_193
.LBB19_256:
	v_sub_nc_u32_e32 v15, v5, v3
	v_lshlrev_b32_e32 v15, 2, v15
	ds_write_b32 v15, v20
	s_or_b32 exec_lo, exec_lo, s4
	s_and_saveexec_b32 s3, s2
	s_cbranch_execz .LBB19_194
.LBB19_257:
	v_sub_nc_u32_e32 v15, v43, v3
	v_lshlrev_b32_e32 v15, 2, v15
	ds_write_b32 v15, v17
	s_or_b32 exec_lo, exec_lo, s3
	s_and_saveexec_b32 s2, s1
	s_cbranch_execnz .LBB19_195
	s_branch .LBB19_196
.LBB19_258:
	v_sub_nc_u32_e32 v16, v57, v4
	v_mov_b32_e32 v17, 0
	v_lshlrev_b64 v[16:17], 2, v[16:17]
	v_add_co_u32 v16, vcc_lo, v13, v16
	v_add_co_ci_u32_e64 v17, null, v14, v17, vcc_lo
	global_store_dword v[16:17], v58, off
	s_or_b32 exec_lo, exec_lo, s17
	s_and_saveexec_b32 s17, s13
	s_cbranch_execz .LBB19_200
.LBB19_259:
	v_sub_nc_u32_e32 v16, v61, v4
	v_mov_b32_e32 v17, 0
	v_lshlrev_b64 v[16:17], 2, v[16:17]
	v_add_co_u32 v16, vcc_lo, v13, v16
	v_add_co_ci_u32_e64 v17, null, v14, v17, vcc_lo
	global_store_dword v[16:17], v62, off
	s_or_b32 exec_lo, exec_lo, s17
	s_and_saveexec_b32 s17, s12
	s_cbranch_execz .LBB19_201
.LBB19_260:
	v_sub_nc_u32_e32 v16, v59, v4
	v_mov_b32_e32 v17, 0
	v_lshlrev_b64 v[16:17], 2, v[16:17]
	v_add_co_u32 v16, vcc_lo, v13, v16
	v_add_co_ci_u32_e64 v17, null, v14, v17, vcc_lo
	global_store_dword v[16:17], v60, off
	s_or_b32 exec_lo, exec_lo, s17
	s_and_saveexec_b32 s17, s11
	s_cbranch_execz .LBB19_202
.LBB19_261:
	v_sub_nc_u32_e32 v16, v55, v4
	v_mov_b32_e32 v17, 0
	v_lshlrev_b64 v[16:17], 2, v[16:17]
	v_add_co_u32 v16, vcc_lo, v13, v16
	v_add_co_ci_u32_e64 v17, null, v14, v17, vcc_lo
	global_store_dword v[16:17], v56, off
	s_or_b32 exec_lo, exec_lo, s17
	s_and_saveexec_b32 s17, s10
	s_cbranch_execz .LBB19_203
.LBB19_262:
	v_sub_nc_u32_e32 v16, v51, v4
	v_mov_b32_e32 v17, 0
	v_lshlrev_b64 v[16:17], 2, v[16:17]
	v_add_co_u32 v16, vcc_lo, v13, v16
	v_add_co_ci_u32_e64 v17, null, v14, v17, vcc_lo
	global_store_dword v[16:17], v52, off
	s_or_b32 exec_lo, exec_lo, s17
	s_and_saveexec_b32 s17, s9
	s_cbranch_execz .LBB19_204
.LBB19_263:
	v_sub_nc_u32_e32 v16, v47, v4
	v_mov_b32_e32 v17, 0
	v_lshlrev_b64 v[16:17], 2, v[16:17]
	v_add_co_u32 v16, vcc_lo, v13, v16
	v_add_co_ci_u32_e64 v17, null, v14, v17, vcc_lo
	global_store_dword v[16:17], v48, off
	s_or_b32 exec_lo, exec_lo, s17
	s_and_saveexec_b32 s17, s8
	s_cbranch_execz .LBB19_205
.LBB19_264:
	v_sub_nc_u32_e32 v16, v45, v4
	v_mov_b32_e32 v17, 0
	v_lshlrev_b64 v[16:17], 2, v[16:17]
	v_add_co_u32 v16, vcc_lo, v13, v16
	v_add_co_ci_u32_e64 v17, null, v14, v17, vcc_lo
	global_store_dword v[16:17], v46, off
	s_or_b32 exec_lo, exec_lo, s17
	s_and_saveexec_b32 s17, s7
	s_cbranch_execz .LBB19_206
.LBB19_265:
	v_sub_nc_u32_e32 v16, v49, v4
	v_mov_b32_e32 v17, 0
	v_lshlrev_b64 v[16:17], 2, v[16:17]
	v_add_co_u32 v16, vcc_lo, v13, v16
	v_add_co_ci_u32_e64 v17, null, v14, v17, vcc_lo
	global_store_dword v[16:17], v50, off
	s_or_b32 exec_lo, exec_lo, s17
	s_and_saveexec_b32 s17, s6
	s_cbranch_execz .LBB19_207
.LBB19_266:
	v_sub_nc_u32_e32 v16, v53, v4
	v_mov_b32_e32 v17, 0
	v_lshlrev_b64 v[16:17], 2, v[16:17]
	v_add_co_u32 v16, vcc_lo, v13, v16
	v_add_co_ci_u32_e64 v17, null, v14, v17, vcc_lo
	global_store_dword v[16:17], v54, off
	s_or_b32 exec_lo, exec_lo, s17
	s_and_saveexec_b32 s17, s5
	s_cbranch_execz .LBB19_208
.LBB19_267:
	v_sub_nc_u32_e32 v16, v37, v4
	v_mov_b32_e32 v17, 0
	v_lshlrev_b64 v[16:17], 2, v[16:17]
	v_add_co_u32 v16, vcc_lo, v13, v16
	v_add_co_ci_u32_e64 v17, null, v14, v17, vcc_lo
	global_store_dword v[16:17], v38, off
	s_or_b32 exec_lo, exec_lo, s17
	s_and_saveexec_b32 s17, s4
	s_cbranch_execz .LBB19_209
.LBB19_268:
	v_sub_nc_u32_e32 v16, v41, v4
	v_mov_b32_e32 v17, 0
	v_lshlrev_b64 v[16:17], 2, v[16:17]
	v_add_co_u32 v16, vcc_lo, v13, v16
	v_add_co_ci_u32_e64 v17, null, v14, v17, vcc_lo
	global_store_dword v[16:17], v42, off
	s_or_b32 exec_lo, exec_lo, s17
	s_and_saveexec_b32 s17, s3
	s_cbranch_execz .LBB19_210
.LBB19_269:
	v_sub_nc_u32_e32 v16, v5, v4
	v_mov_b32_e32 v17, 0
	v_lshlrev_b64 v[16:17], 2, v[16:17]
	v_add_co_u32 v16, vcc_lo, v13, v16
	v_add_co_ci_u32_e64 v17, null, v14, v17, vcc_lo
	global_store_dword v[16:17], v6, off
	s_or_b32 exec_lo, exec_lo, s17
	s_and_saveexec_b32 s17, s2
	s_cbranch_execz .LBB19_211
.LBB19_270:
	v_sub_nc_u32_e32 v16, v43, v4
	v_mov_b32_e32 v17, 0
	v_lshlrev_b64 v[16:17], 2, v[16:17]
	v_add_co_u32 v16, vcc_lo, v13, v16
	v_add_co_ci_u32_e64 v17, null, v14, v17, vcc_lo
	global_store_dword v[16:17], v44, off
	s_or_b32 exec_lo, exec_lo, s17
	s_and_saveexec_b32 s17, s1
	s_cbranch_execnz .LBB19_212
	s_branch .LBB19_213
.LBB19_271:
	v_sub_nc_u32_e32 v15, v57, v4
	v_lshlrev_b32_e32 v15, 2, v15
	ds_write_b32 v15, v58
	s_or_b32 exec_lo, exec_lo, s17
	s_and_saveexec_b32 s14, s13
	s_cbranch_execz .LBB19_217
.LBB19_272:
	v_sub_nc_u32_e32 v15, v61, v4
	v_lshlrev_b32_e32 v15, 2, v15
	ds_write_b32 v15, v62
	s_or_b32 exec_lo, exec_lo, s14
	s_and_saveexec_b32 s13, s12
	s_cbranch_execz .LBB19_218
.LBB19_273:
	v_sub_nc_u32_e32 v15, v59, v4
	v_lshlrev_b32_e32 v15, 2, v15
	ds_write_b32 v15, v60
	s_or_b32 exec_lo, exec_lo, s13
	s_and_saveexec_b32 s12, s11
	s_cbranch_execz .LBB19_219
.LBB19_274:
	v_sub_nc_u32_e32 v15, v55, v4
	v_lshlrev_b32_e32 v15, 2, v15
	ds_write_b32 v15, v56
	s_or_b32 exec_lo, exec_lo, s12
	s_and_saveexec_b32 s11, s10
	s_cbranch_execz .LBB19_220
.LBB19_275:
	v_sub_nc_u32_e32 v15, v51, v4
	v_lshlrev_b32_e32 v15, 2, v15
	ds_write_b32 v15, v52
	s_or_b32 exec_lo, exec_lo, s11
	s_and_saveexec_b32 s10, s9
	s_cbranch_execz .LBB19_221
.LBB19_276:
	v_sub_nc_u32_e32 v15, v47, v4
	v_lshlrev_b32_e32 v15, 2, v15
	ds_write_b32 v15, v48
	s_or_b32 exec_lo, exec_lo, s10
	s_and_saveexec_b32 s9, s8
	s_cbranch_execz .LBB19_222
.LBB19_277:
	v_sub_nc_u32_e32 v15, v45, v4
	v_lshlrev_b32_e32 v15, 2, v15
	ds_write_b32 v15, v46
	s_or_b32 exec_lo, exec_lo, s9
	s_and_saveexec_b32 s8, s7
	s_cbranch_execz .LBB19_223
.LBB19_278:
	v_sub_nc_u32_e32 v15, v49, v4
	v_lshlrev_b32_e32 v15, 2, v15
	ds_write_b32 v15, v50
	s_or_b32 exec_lo, exec_lo, s8
	s_and_saveexec_b32 s7, s6
	s_cbranch_execz .LBB19_224
.LBB19_279:
	v_sub_nc_u32_e32 v15, v53, v4
	v_lshlrev_b32_e32 v15, 2, v15
	ds_write_b32 v15, v54
	s_or_b32 exec_lo, exec_lo, s7
	s_and_saveexec_b32 s6, s5
	s_cbranch_execz .LBB19_225
.LBB19_280:
	v_sub_nc_u32_e32 v15, v37, v4
	v_lshlrev_b32_e32 v15, 2, v15
	ds_write_b32 v15, v38
	s_or_b32 exec_lo, exec_lo, s6
	s_and_saveexec_b32 s5, s4
	s_cbranch_execz .LBB19_226
.LBB19_281:
	v_sub_nc_u32_e32 v15, v41, v4
	v_lshlrev_b32_e32 v15, 2, v15
	ds_write_b32 v15, v42
	s_or_b32 exec_lo, exec_lo, s5
	s_and_saveexec_b32 s4, s3
	s_cbranch_execz .LBB19_227
.LBB19_282:
	v_sub_nc_u32_e32 v5, v5, v4
	v_lshlrev_b32_e32 v5, 2, v5
	ds_write_b32 v5, v6
	s_or_b32 exec_lo, exec_lo, s4
	s_and_saveexec_b32 s3, s2
	s_cbranch_execz .LBB19_228
.LBB19_283:
	v_sub_nc_u32_e32 v5, v43, v4
	v_lshlrev_b32_e32 v5, 2, v5
	ds_write_b32 v5, v44
	s_or_b32 exec_lo, exec_lo, s3
	s_and_saveexec_b32 s2, s1
	s_cbranch_execnz .LBB19_229
	s_branch .LBB19_230
	.section	.rodata,"a",@progbits
	.p2align	6, 0x0
	.amdhsa_kernel _ZN7rocprim17ROCPRIM_400000_NS6detail17trampoline_kernelINS0_14default_configENS1_29reduce_by_key_config_selectorIiiN6thrust23THRUST_200600_302600_NS4plusIiEEEEZZNS1_33reduce_by_key_impl_wrapped_configILNS1_25lookback_scan_determinismE0ES3_S9_NS6_18transform_iteratorI25linear_index_to_row_indexIiENS6_17counting_iteratorIiNS6_11use_defaultESG_SG_EESG_SG_EENS6_6detail15normal_iteratorINS6_10device_ptrIiEEEESN_SN_PmS8_NS6_8equal_toIiEEEE10hipError_tPvRmT2_T3_mT4_T5_T6_T7_T8_P12ihipStream_tbENKUlT_T0_E_clISt17integral_constantIbLb0EES18_EEDaS13_S14_EUlS13_E_NS1_11comp_targetILNS1_3genE8ELNS1_11target_archE1030ELNS1_3gpuE2ELNS1_3repE0EEENS1_30default_config_static_selectorELNS0_4arch9wavefront6targetE0EEEvT1_
		.amdhsa_group_segment_fixed_size 15360
		.amdhsa_private_segment_fixed_size 0
		.amdhsa_kernarg_size 120
		.amdhsa_user_sgpr_count 6
		.amdhsa_user_sgpr_private_segment_buffer 1
		.amdhsa_user_sgpr_dispatch_ptr 0
		.amdhsa_user_sgpr_queue_ptr 0
		.amdhsa_user_sgpr_kernarg_segment_ptr 1
		.amdhsa_user_sgpr_dispatch_id 0
		.amdhsa_user_sgpr_flat_scratch_init 0
		.amdhsa_user_sgpr_private_segment_size 0
		.amdhsa_wavefront_size32 1
		.amdhsa_uses_dynamic_stack 0
		.amdhsa_system_sgpr_private_segment_wavefront_offset 0
		.amdhsa_system_sgpr_workgroup_id_x 1
		.amdhsa_system_sgpr_workgroup_id_y 0
		.amdhsa_system_sgpr_workgroup_id_z 0
		.amdhsa_system_sgpr_workgroup_info 0
		.amdhsa_system_vgpr_workitem_id 0
		.amdhsa_next_free_vgpr 87
		.amdhsa_next_free_sgpr 50
		.amdhsa_reserve_vcc 1
		.amdhsa_reserve_flat_scratch 1
		.amdhsa_float_round_mode_32 0
		.amdhsa_float_round_mode_16_64 0
		.amdhsa_float_denorm_mode_32 3
		.amdhsa_float_denorm_mode_16_64 3
		.amdhsa_dx10_clamp 1
		.amdhsa_ieee_mode 1
		.amdhsa_fp16_overflow 0
		.amdhsa_workgroup_processor_mode 1
		.amdhsa_memory_ordered 1
		.amdhsa_forward_progress 1
		.amdhsa_shared_vgpr_count 0
		.amdhsa_exception_fp_ieee_invalid_op 0
		.amdhsa_exception_fp_denorm_src 0
		.amdhsa_exception_fp_ieee_div_zero 0
		.amdhsa_exception_fp_ieee_overflow 0
		.amdhsa_exception_fp_ieee_underflow 0
		.amdhsa_exception_fp_ieee_inexact 0
		.amdhsa_exception_int_div_zero 0
	.end_amdhsa_kernel
	.section	.text._ZN7rocprim17ROCPRIM_400000_NS6detail17trampoline_kernelINS0_14default_configENS1_29reduce_by_key_config_selectorIiiN6thrust23THRUST_200600_302600_NS4plusIiEEEEZZNS1_33reduce_by_key_impl_wrapped_configILNS1_25lookback_scan_determinismE0ES3_S9_NS6_18transform_iteratorI25linear_index_to_row_indexIiENS6_17counting_iteratorIiNS6_11use_defaultESG_SG_EESG_SG_EENS6_6detail15normal_iteratorINS6_10device_ptrIiEEEESN_SN_PmS8_NS6_8equal_toIiEEEE10hipError_tPvRmT2_T3_mT4_T5_T6_T7_T8_P12ihipStream_tbENKUlT_T0_E_clISt17integral_constantIbLb0EES18_EEDaS13_S14_EUlS13_E_NS1_11comp_targetILNS1_3genE8ELNS1_11target_archE1030ELNS1_3gpuE2ELNS1_3repE0EEENS1_30default_config_static_selectorELNS0_4arch9wavefront6targetE0EEEvT1_,"axG",@progbits,_ZN7rocprim17ROCPRIM_400000_NS6detail17trampoline_kernelINS0_14default_configENS1_29reduce_by_key_config_selectorIiiN6thrust23THRUST_200600_302600_NS4plusIiEEEEZZNS1_33reduce_by_key_impl_wrapped_configILNS1_25lookback_scan_determinismE0ES3_S9_NS6_18transform_iteratorI25linear_index_to_row_indexIiENS6_17counting_iteratorIiNS6_11use_defaultESG_SG_EESG_SG_EENS6_6detail15normal_iteratorINS6_10device_ptrIiEEEESN_SN_PmS8_NS6_8equal_toIiEEEE10hipError_tPvRmT2_T3_mT4_T5_T6_T7_T8_P12ihipStream_tbENKUlT_T0_E_clISt17integral_constantIbLb0EES18_EEDaS13_S14_EUlS13_E_NS1_11comp_targetILNS1_3genE8ELNS1_11target_archE1030ELNS1_3gpuE2ELNS1_3repE0EEENS1_30default_config_static_selectorELNS0_4arch9wavefront6targetE0EEEvT1_,comdat
.Lfunc_end19:
	.size	_ZN7rocprim17ROCPRIM_400000_NS6detail17trampoline_kernelINS0_14default_configENS1_29reduce_by_key_config_selectorIiiN6thrust23THRUST_200600_302600_NS4plusIiEEEEZZNS1_33reduce_by_key_impl_wrapped_configILNS1_25lookback_scan_determinismE0ES3_S9_NS6_18transform_iteratorI25linear_index_to_row_indexIiENS6_17counting_iteratorIiNS6_11use_defaultESG_SG_EESG_SG_EENS6_6detail15normal_iteratorINS6_10device_ptrIiEEEESN_SN_PmS8_NS6_8equal_toIiEEEE10hipError_tPvRmT2_T3_mT4_T5_T6_T7_T8_P12ihipStream_tbENKUlT_T0_E_clISt17integral_constantIbLb0EES18_EEDaS13_S14_EUlS13_E_NS1_11comp_targetILNS1_3genE8ELNS1_11target_archE1030ELNS1_3gpuE2ELNS1_3repE0EEENS1_30default_config_static_selectorELNS0_4arch9wavefront6targetE0EEEvT1_, .Lfunc_end19-_ZN7rocprim17ROCPRIM_400000_NS6detail17trampoline_kernelINS0_14default_configENS1_29reduce_by_key_config_selectorIiiN6thrust23THRUST_200600_302600_NS4plusIiEEEEZZNS1_33reduce_by_key_impl_wrapped_configILNS1_25lookback_scan_determinismE0ES3_S9_NS6_18transform_iteratorI25linear_index_to_row_indexIiENS6_17counting_iteratorIiNS6_11use_defaultESG_SG_EESG_SG_EENS6_6detail15normal_iteratorINS6_10device_ptrIiEEEESN_SN_PmS8_NS6_8equal_toIiEEEE10hipError_tPvRmT2_T3_mT4_T5_T6_T7_T8_P12ihipStream_tbENKUlT_T0_E_clISt17integral_constantIbLb0EES18_EEDaS13_S14_EUlS13_E_NS1_11comp_targetILNS1_3genE8ELNS1_11target_archE1030ELNS1_3gpuE2ELNS1_3repE0EEENS1_30default_config_static_selectorELNS0_4arch9wavefront6targetE0EEEvT1_
                                        ; -- End function
	.set _ZN7rocprim17ROCPRIM_400000_NS6detail17trampoline_kernelINS0_14default_configENS1_29reduce_by_key_config_selectorIiiN6thrust23THRUST_200600_302600_NS4plusIiEEEEZZNS1_33reduce_by_key_impl_wrapped_configILNS1_25lookback_scan_determinismE0ES3_S9_NS6_18transform_iteratorI25linear_index_to_row_indexIiENS6_17counting_iteratorIiNS6_11use_defaultESG_SG_EESG_SG_EENS6_6detail15normal_iteratorINS6_10device_ptrIiEEEESN_SN_PmS8_NS6_8equal_toIiEEEE10hipError_tPvRmT2_T3_mT4_T5_T6_T7_T8_P12ihipStream_tbENKUlT_T0_E_clISt17integral_constantIbLb0EES18_EEDaS13_S14_EUlS13_E_NS1_11comp_targetILNS1_3genE8ELNS1_11target_archE1030ELNS1_3gpuE2ELNS1_3repE0EEENS1_30default_config_static_selectorELNS0_4arch9wavefront6targetE0EEEvT1_.num_vgpr, 87
	.set _ZN7rocprim17ROCPRIM_400000_NS6detail17trampoline_kernelINS0_14default_configENS1_29reduce_by_key_config_selectorIiiN6thrust23THRUST_200600_302600_NS4plusIiEEEEZZNS1_33reduce_by_key_impl_wrapped_configILNS1_25lookback_scan_determinismE0ES3_S9_NS6_18transform_iteratorI25linear_index_to_row_indexIiENS6_17counting_iteratorIiNS6_11use_defaultESG_SG_EESG_SG_EENS6_6detail15normal_iteratorINS6_10device_ptrIiEEEESN_SN_PmS8_NS6_8equal_toIiEEEE10hipError_tPvRmT2_T3_mT4_T5_T6_T7_T8_P12ihipStream_tbENKUlT_T0_E_clISt17integral_constantIbLb0EES18_EEDaS13_S14_EUlS13_E_NS1_11comp_targetILNS1_3genE8ELNS1_11target_archE1030ELNS1_3gpuE2ELNS1_3repE0EEENS1_30default_config_static_selectorELNS0_4arch9wavefront6targetE0EEEvT1_.num_agpr, 0
	.set _ZN7rocprim17ROCPRIM_400000_NS6detail17trampoline_kernelINS0_14default_configENS1_29reduce_by_key_config_selectorIiiN6thrust23THRUST_200600_302600_NS4plusIiEEEEZZNS1_33reduce_by_key_impl_wrapped_configILNS1_25lookback_scan_determinismE0ES3_S9_NS6_18transform_iteratorI25linear_index_to_row_indexIiENS6_17counting_iteratorIiNS6_11use_defaultESG_SG_EESG_SG_EENS6_6detail15normal_iteratorINS6_10device_ptrIiEEEESN_SN_PmS8_NS6_8equal_toIiEEEE10hipError_tPvRmT2_T3_mT4_T5_T6_T7_T8_P12ihipStream_tbENKUlT_T0_E_clISt17integral_constantIbLb0EES18_EEDaS13_S14_EUlS13_E_NS1_11comp_targetILNS1_3genE8ELNS1_11target_archE1030ELNS1_3gpuE2ELNS1_3repE0EEENS1_30default_config_static_selectorELNS0_4arch9wavefront6targetE0EEEvT1_.numbered_sgpr, 50
	.set _ZN7rocprim17ROCPRIM_400000_NS6detail17trampoline_kernelINS0_14default_configENS1_29reduce_by_key_config_selectorIiiN6thrust23THRUST_200600_302600_NS4plusIiEEEEZZNS1_33reduce_by_key_impl_wrapped_configILNS1_25lookback_scan_determinismE0ES3_S9_NS6_18transform_iteratorI25linear_index_to_row_indexIiENS6_17counting_iteratorIiNS6_11use_defaultESG_SG_EESG_SG_EENS6_6detail15normal_iteratorINS6_10device_ptrIiEEEESN_SN_PmS8_NS6_8equal_toIiEEEE10hipError_tPvRmT2_T3_mT4_T5_T6_T7_T8_P12ihipStream_tbENKUlT_T0_E_clISt17integral_constantIbLb0EES18_EEDaS13_S14_EUlS13_E_NS1_11comp_targetILNS1_3genE8ELNS1_11target_archE1030ELNS1_3gpuE2ELNS1_3repE0EEENS1_30default_config_static_selectorELNS0_4arch9wavefront6targetE0EEEvT1_.num_named_barrier, 0
	.set _ZN7rocprim17ROCPRIM_400000_NS6detail17trampoline_kernelINS0_14default_configENS1_29reduce_by_key_config_selectorIiiN6thrust23THRUST_200600_302600_NS4plusIiEEEEZZNS1_33reduce_by_key_impl_wrapped_configILNS1_25lookback_scan_determinismE0ES3_S9_NS6_18transform_iteratorI25linear_index_to_row_indexIiENS6_17counting_iteratorIiNS6_11use_defaultESG_SG_EESG_SG_EENS6_6detail15normal_iteratorINS6_10device_ptrIiEEEESN_SN_PmS8_NS6_8equal_toIiEEEE10hipError_tPvRmT2_T3_mT4_T5_T6_T7_T8_P12ihipStream_tbENKUlT_T0_E_clISt17integral_constantIbLb0EES18_EEDaS13_S14_EUlS13_E_NS1_11comp_targetILNS1_3genE8ELNS1_11target_archE1030ELNS1_3gpuE2ELNS1_3repE0EEENS1_30default_config_static_selectorELNS0_4arch9wavefront6targetE0EEEvT1_.private_seg_size, 0
	.set _ZN7rocprim17ROCPRIM_400000_NS6detail17trampoline_kernelINS0_14default_configENS1_29reduce_by_key_config_selectorIiiN6thrust23THRUST_200600_302600_NS4plusIiEEEEZZNS1_33reduce_by_key_impl_wrapped_configILNS1_25lookback_scan_determinismE0ES3_S9_NS6_18transform_iteratorI25linear_index_to_row_indexIiENS6_17counting_iteratorIiNS6_11use_defaultESG_SG_EESG_SG_EENS6_6detail15normal_iteratorINS6_10device_ptrIiEEEESN_SN_PmS8_NS6_8equal_toIiEEEE10hipError_tPvRmT2_T3_mT4_T5_T6_T7_T8_P12ihipStream_tbENKUlT_T0_E_clISt17integral_constantIbLb0EES18_EEDaS13_S14_EUlS13_E_NS1_11comp_targetILNS1_3genE8ELNS1_11target_archE1030ELNS1_3gpuE2ELNS1_3repE0EEENS1_30default_config_static_selectorELNS0_4arch9wavefront6targetE0EEEvT1_.uses_vcc, 1
	.set _ZN7rocprim17ROCPRIM_400000_NS6detail17trampoline_kernelINS0_14default_configENS1_29reduce_by_key_config_selectorIiiN6thrust23THRUST_200600_302600_NS4plusIiEEEEZZNS1_33reduce_by_key_impl_wrapped_configILNS1_25lookback_scan_determinismE0ES3_S9_NS6_18transform_iteratorI25linear_index_to_row_indexIiENS6_17counting_iteratorIiNS6_11use_defaultESG_SG_EESG_SG_EENS6_6detail15normal_iteratorINS6_10device_ptrIiEEEESN_SN_PmS8_NS6_8equal_toIiEEEE10hipError_tPvRmT2_T3_mT4_T5_T6_T7_T8_P12ihipStream_tbENKUlT_T0_E_clISt17integral_constantIbLb0EES18_EEDaS13_S14_EUlS13_E_NS1_11comp_targetILNS1_3genE8ELNS1_11target_archE1030ELNS1_3gpuE2ELNS1_3repE0EEENS1_30default_config_static_selectorELNS0_4arch9wavefront6targetE0EEEvT1_.uses_flat_scratch, 1
	.set _ZN7rocprim17ROCPRIM_400000_NS6detail17trampoline_kernelINS0_14default_configENS1_29reduce_by_key_config_selectorIiiN6thrust23THRUST_200600_302600_NS4plusIiEEEEZZNS1_33reduce_by_key_impl_wrapped_configILNS1_25lookback_scan_determinismE0ES3_S9_NS6_18transform_iteratorI25linear_index_to_row_indexIiENS6_17counting_iteratorIiNS6_11use_defaultESG_SG_EESG_SG_EENS6_6detail15normal_iteratorINS6_10device_ptrIiEEEESN_SN_PmS8_NS6_8equal_toIiEEEE10hipError_tPvRmT2_T3_mT4_T5_T6_T7_T8_P12ihipStream_tbENKUlT_T0_E_clISt17integral_constantIbLb0EES18_EEDaS13_S14_EUlS13_E_NS1_11comp_targetILNS1_3genE8ELNS1_11target_archE1030ELNS1_3gpuE2ELNS1_3repE0EEENS1_30default_config_static_selectorELNS0_4arch9wavefront6targetE0EEEvT1_.has_dyn_sized_stack, 0
	.set _ZN7rocprim17ROCPRIM_400000_NS6detail17trampoline_kernelINS0_14default_configENS1_29reduce_by_key_config_selectorIiiN6thrust23THRUST_200600_302600_NS4plusIiEEEEZZNS1_33reduce_by_key_impl_wrapped_configILNS1_25lookback_scan_determinismE0ES3_S9_NS6_18transform_iteratorI25linear_index_to_row_indexIiENS6_17counting_iteratorIiNS6_11use_defaultESG_SG_EESG_SG_EENS6_6detail15normal_iteratorINS6_10device_ptrIiEEEESN_SN_PmS8_NS6_8equal_toIiEEEE10hipError_tPvRmT2_T3_mT4_T5_T6_T7_T8_P12ihipStream_tbENKUlT_T0_E_clISt17integral_constantIbLb0EES18_EEDaS13_S14_EUlS13_E_NS1_11comp_targetILNS1_3genE8ELNS1_11target_archE1030ELNS1_3gpuE2ELNS1_3repE0EEENS1_30default_config_static_selectorELNS0_4arch9wavefront6targetE0EEEvT1_.has_recursion, 0
	.set _ZN7rocprim17ROCPRIM_400000_NS6detail17trampoline_kernelINS0_14default_configENS1_29reduce_by_key_config_selectorIiiN6thrust23THRUST_200600_302600_NS4plusIiEEEEZZNS1_33reduce_by_key_impl_wrapped_configILNS1_25lookback_scan_determinismE0ES3_S9_NS6_18transform_iteratorI25linear_index_to_row_indexIiENS6_17counting_iteratorIiNS6_11use_defaultESG_SG_EESG_SG_EENS6_6detail15normal_iteratorINS6_10device_ptrIiEEEESN_SN_PmS8_NS6_8equal_toIiEEEE10hipError_tPvRmT2_T3_mT4_T5_T6_T7_T8_P12ihipStream_tbENKUlT_T0_E_clISt17integral_constantIbLb0EES18_EEDaS13_S14_EUlS13_E_NS1_11comp_targetILNS1_3genE8ELNS1_11target_archE1030ELNS1_3gpuE2ELNS1_3repE0EEENS1_30default_config_static_selectorELNS0_4arch9wavefront6targetE0EEEvT1_.has_indirect_call, 0
	.section	.AMDGPU.csdata,"",@progbits
; Kernel info:
; codeLenInByte = 19180
; TotalNumSgprs: 52
; NumVgprs: 87
; ScratchSize: 0
; MemoryBound: 0
; FloatMode: 240
; IeeeMode: 1
; LDSByteSize: 15360 bytes/workgroup (compile time only)
; SGPRBlocks: 0
; VGPRBlocks: 10
; NumSGPRsForWavesPerEU: 52
; NumVGPRsForWavesPerEU: 87
; Occupancy: 10
; WaveLimiterHint : 1
; COMPUTE_PGM_RSRC2:SCRATCH_EN: 0
; COMPUTE_PGM_RSRC2:USER_SGPR: 6
; COMPUTE_PGM_RSRC2:TRAP_HANDLER: 0
; COMPUTE_PGM_RSRC2:TGID_X_EN: 1
; COMPUTE_PGM_RSRC2:TGID_Y_EN: 0
; COMPUTE_PGM_RSRC2:TGID_Z_EN: 0
; COMPUTE_PGM_RSRC2:TIDIG_COMP_CNT: 0
	.section	.text._ZN7rocprim17ROCPRIM_400000_NS6detail25reduce_by_key_init_kernelINS1_19lookback_scan_stateINS0_5tupleIJjiEEELb1ELb1EEEiNS1_16block_id_wrapperIjLb1EEEEEvT_jbjPmPT0_T1_,"axG",@progbits,_ZN7rocprim17ROCPRIM_400000_NS6detail25reduce_by_key_init_kernelINS1_19lookback_scan_stateINS0_5tupleIJjiEEELb1ELb1EEEiNS1_16block_id_wrapperIjLb1EEEEEvT_jbjPmPT0_T1_,comdat
	.protected	_ZN7rocprim17ROCPRIM_400000_NS6detail25reduce_by_key_init_kernelINS1_19lookback_scan_stateINS0_5tupleIJjiEEELb1ELb1EEEiNS1_16block_id_wrapperIjLb1EEEEEvT_jbjPmPT0_T1_ ; -- Begin function _ZN7rocprim17ROCPRIM_400000_NS6detail25reduce_by_key_init_kernelINS1_19lookback_scan_stateINS0_5tupleIJjiEEELb1ELb1EEEiNS1_16block_id_wrapperIjLb1EEEEEvT_jbjPmPT0_T1_
	.globl	_ZN7rocprim17ROCPRIM_400000_NS6detail25reduce_by_key_init_kernelINS1_19lookback_scan_stateINS0_5tupleIJjiEEELb1ELb1EEEiNS1_16block_id_wrapperIjLb1EEEEEvT_jbjPmPT0_T1_
	.p2align	8
	.type	_ZN7rocprim17ROCPRIM_400000_NS6detail25reduce_by_key_init_kernelINS1_19lookback_scan_stateINS0_5tupleIJjiEEELb1ELb1EEEiNS1_16block_id_wrapperIjLb1EEEEEvT_jbjPmPT0_T1_,@function
_ZN7rocprim17ROCPRIM_400000_NS6detail25reduce_by_key_init_kernelINS1_19lookback_scan_stateINS0_5tupleIJjiEEELb1ELb1EEEiNS1_16block_id_wrapperIjLb1EEEEEvT_jbjPmPT0_T1_: ; @_ZN7rocprim17ROCPRIM_400000_NS6detail25reduce_by_key_init_kernelINS1_19lookback_scan_stateINS0_5tupleIJjiEEELb1ELb1EEEiNS1_16block_id_wrapperIjLb1EEEEEvT_jbjPmPT0_T1_
; %bb.0:
	s_clause 0x3
	s_load_dword s0, s[4:5], 0x3c
	s_load_dwordx8 s[8:15], s[4:5], 0x8
	s_load_dwordx2 s[16:17], s[4:5], 0x28
	s_load_dwordx2 s[2:3], s[4:5], 0x0
	s_mov_b32 s1, -1
	s_waitcnt lgkmcnt(0)
	s_and_b32 s0, s0, 0xffff
	v_mad_u64_u32 v[0:1], null, s6, s0, v[0:1]
	s_and_b32 s0, s9, 1
	s_cmp_eq_u32 s0, 0
	s_cbranch_scc0 .LBB20_10
; %bb.1:
	s_cmp_lt_u32 s10, s8
	s_mov_b32 s6, exec_lo
	s_cselect_b32 s0, s10, 0
	v_cmpx_eq_u32_e64 s0, v0
	s_cbranch_execz .LBB20_9
; %bb.2:
	s_add_i32 s0, s10, 32
	s_mov_b32 s1, 0
	v_mov_b32_e32 v5, 0
	s_lshl_b64 s[4:5], s[0:1], 4
	s_mov_b32 s0, exec_lo
	s_add_u32 s4, s2, s4
	s_addc_u32 s5, s3, s5
	v_mov_b32_e32 v1, s4
	v_mov_b32_e32 v2, s5
	;;#ASMSTART
	global_load_dwordx4 v[1:4], v[1:2] off glc dlc	
s_waitcnt vmcnt(0)
	;;#ASMEND
	v_and_b32_e32 v4, 0xff, v3
	v_cmpx_eq_u64_e32 0, v[4:5]
	s_cbranch_execz .LBB20_8
; %bb.3:
	v_mov_b32_e32 v7, s5
	v_mov_b32_e32 v6, s4
	s_mov_b32 s4, 1
	.p2align	6
.LBB20_4:                               ; =>This Loop Header: Depth=1
                                        ;     Child Loop BB20_5 Depth 2
	s_mov_b32 s5, s4
.LBB20_5:                               ;   Parent Loop BB20_4 Depth=1
                                        ; =>  This Inner Loop Header: Depth=2
	s_add_i32 s5, s5, -1
	s_sleep 1
	s_cmp_eq_u32 s5, 0
	s_cbranch_scc0 .LBB20_5
; %bb.6:                                ;   in Loop: Header=BB20_4 Depth=1
	;;#ASMSTART
	global_load_dwordx4 v[1:4], v[6:7] off glc dlc	
s_waitcnt vmcnt(0)
	;;#ASMEND
	v_and_b32_e32 v4, 0xff, v3
	s_cmp_lt_u32 s4, 32
	s_cselect_b32 s5, -1, 0
	s_cmp_lg_u32 s5, 0
	v_cmp_ne_u64_e32 vcc_lo, 0, v[4:5]
	s_addc_u32 s4, s4, 0
	s_or_b32 s1, vcc_lo, s1
	s_andn2_b32 exec_lo, exec_lo, s1
	s_cbranch_execnz .LBB20_4
; %bb.7:
	s_or_b32 exec_lo, exec_lo, s1
.LBB20_8:
	s_or_b32 exec_lo, exec_lo, s0
	v_mov_b32_e32 v5, 0
	global_load_dwordx2 v[3:4], v5, s[12:13]
	s_waitcnt vmcnt(0)
	v_add_co_u32 v3, vcc_lo, v3, v1
	v_add_co_ci_u32_e64 v4, null, 0, v4, vcc_lo
	global_store_dwordx2 v5, v[3:4], s[12:13]
	global_store_dword v5, v2, s[14:15]
.LBB20_9:
	s_or_b32 exec_lo, exec_lo, s6
	s_mov_b32 s1, 0
.LBB20_10:
	v_cmp_eq_u32_e64 s0, 0, v0
	s_andn2_b32 vcc_lo, exec_lo, s1
	s_cbranch_vccnz .LBB20_14
; %bb.11:
	s_cmp_lg_u64 s[12:13], 0
	s_cselect_b32 s1, -1, 0
	s_and_b32 s1, s1, s0
	s_and_saveexec_b32 s0, s1
	s_cbranch_execz .LBB20_13
; %bb.12:
	v_mov_b32_e32 v1, 0
	v_mov_b32_e32 v2, v1
	global_store_dwordx2 v1, v[1:2], s[12:13]
.LBB20_13:
	s_or_b32 exec_lo, exec_lo, s0
.LBB20_14:
	s_mov_b32 s0, exec_lo
	v_cmpx_eq_u32_e32 0, v0
	s_cbranch_execz .LBB20_16
; %bb.15:
	v_mov_b32_e32 v1, 0
	global_store_dword v1, v1, s[16:17]
.LBB20_16:
	s_or_b32 exec_lo, exec_lo, s0
	s_mov_b32 s0, exec_lo
	v_cmpx_gt_u32_e64 s8, v0
	s_cbranch_execz .LBB20_18
; %bb.17:
	v_add_nc_u32_e32 v1, 32, v0
	v_mov_b32_e32 v2, 0
	v_lshlrev_b64 v[4:5], 4, v[1:2]
	v_mov_b32_e32 v1, v2
	v_mov_b32_e32 v3, v2
	v_add_co_u32 v6, vcc_lo, s2, v4
	v_add_co_ci_u32_e64 v7, null, s3, v5, vcc_lo
	v_mov_b32_e32 v4, v2
	global_store_dwordx4 v[6:7], v[1:4], off
.LBB20_18:
	s_or_b32 exec_lo, exec_lo, s0
	s_mov_b32 s0, exec_lo
	v_cmpx_gt_u32_e32 32, v0
	s_cbranch_execz .LBB20_20
; %bb.19:
	v_mov_b32_e32 v1, 0
	v_mov_b32_e32 v2, 0xff
	v_lshlrev_b64 v[3:4], 4, v[0:1]
	v_mov_b32_e32 v0, v1
	v_add_co_u32 v5, vcc_lo, s2, v3
	v_add_co_ci_u32_e64 v6, null, s3, v4, vcc_lo
	v_mov_b32_e32 v3, v1
	global_store_dwordx4 v[5:6], v[0:3], off
.LBB20_20:
	s_endpgm
	.section	.rodata,"a",@progbits
	.p2align	6, 0x0
	.amdhsa_kernel _ZN7rocprim17ROCPRIM_400000_NS6detail25reduce_by_key_init_kernelINS1_19lookback_scan_stateINS0_5tupleIJjiEEELb1ELb1EEEiNS1_16block_id_wrapperIjLb1EEEEEvT_jbjPmPT0_T1_
		.amdhsa_group_segment_fixed_size 0
		.amdhsa_private_segment_fixed_size 0
		.amdhsa_kernarg_size 304
		.amdhsa_user_sgpr_count 6
		.amdhsa_user_sgpr_private_segment_buffer 1
		.amdhsa_user_sgpr_dispatch_ptr 0
		.amdhsa_user_sgpr_queue_ptr 0
		.amdhsa_user_sgpr_kernarg_segment_ptr 1
		.amdhsa_user_sgpr_dispatch_id 0
		.amdhsa_user_sgpr_flat_scratch_init 0
		.amdhsa_user_sgpr_private_segment_size 0
		.amdhsa_wavefront_size32 1
		.amdhsa_uses_dynamic_stack 0
		.amdhsa_system_sgpr_private_segment_wavefront_offset 0
		.amdhsa_system_sgpr_workgroup_id_x 1
		.amdhsa_system_sgpr_workgroup_id_y 0
		.amdhsa_system_sgpr_workgroup_id_z 0
		.amdhsa_system_sgpr_workgroup_info 0
		.amdhsa_system_vgpr_workitem_id 0
		.amdhsa_next_free_vgpr 8
		.amdhsa_next_free_sgpr 18
		.amdhsa_reserve_vcc 1
		.amdhsa_reserve_flat_scratch 0
		.amdhsa_float_round_mode_32 0
		.amdhsa_float_round_mode_16_64 0
		.amdhsa_float_denorm_mode_32 3
		.amdhsa_float_denorm_mode_16_64 3
		.amdhsa_dx10_clamp 1
		.amdhsa_ieee_mode 1
		.amdhsa_fp16_overflow 0
		.amdhsa_workgroup_processor_mode 1
		.amdhsa_memory_ordered 1
		.amdhsa_forward_progress 1
		.amdhsa_shared_vgpr_count 0
		.amdhsa_exception_fp_ieee_invalid_op 0
		.amdhsa_exception_fp_denorm_src 0
		.amdhsa_exception_fp_ieee_div_zero 0
		.amdhsa_exception_fp_ieee_overflow 0
		.amdhsa_exception_fp_ieee_underflow 0
		.amdhsa_exception_fp_ieee_inexact 0
		.amdhsa_exception_int_div_zero 0
	.end_amdhsa_kernel
	.section	.text._ZN7rocprim17ROCPRIM_400000_NS6detail25reduce_by_key_init_kernelINS1_19lookback_scan_stateINS0_5tupleIJjiEEELb1ELb1EEEiNS1_16block_id_wrapperIjLb1EEEEEvT_jbjPmPT0_T1_,"axG",@progbits,_ZN7rocprim17ROCPRIM_400000_NS6detail25reduce_by_key_init_kernelINS1_19lookback_scan_stateINS0_5tupleIJjiEEELb1ELb1EEEiNS1_16block_id_wrapperIjLb1EEEEEvT_jbjPmPT0_T1_,comdat
.Lfunc_end20:
	.size	_ZN7rocprim17ROCPRIM_400000_NS6detail25reduce_by_key_init_kernelINS1_19lookback_scan_stateINS0_5tupleIJjiEEELb1ELb1EEEiNS1_16block_id_wrapperIjLb1EEEEEvT_jbjPmPT0_T1_, .Lfunc_end20-_ZN7rocprim17ROCPRIM_400000_NS6detail25reduce_by_key_init_kernelINS1_19lookback_scan_stateINS0_5tupleIJjiEEELb1ELb1EEEiNS1_16block_id_wrapperIjLb1EEEEEvT_jbjPmPT0_T1_
                                        ; -- End function
	.set _ZN7rocprim17ROCPRIM_400000_NS6detail25reduce_by_key_init_kernelINS1_19lookback_scan_stateINS0_5tupleIJjiEEELb1ELb1EEEiNS1_16block_id_wrapperIjLb1EEEEEvT_jbjPmPT0_T1_.num_vgpr, 8
	.set _ZN7rocprim17ROCPRIM_400000_NS6detail25reduce_by_key_init_kernelINS1_19lookback_scan_stateINS0_5tupleIJjiEEELb1ELb1EEEiNS1_16block_id_wrapperIjLb1EEEEEvT_jbjPmPT0_T1_.num_agpr, 0
	.set _ZN7rocprim17ROCPRIM_400000_NS6detail25reduce_by_key_init_kernelINS1_19lookback_scan_stateINS0_5tupleIJjiEEELb1ELb1EEEiNS1_16block_id_wrapperIjLb1EEEEEvT_jbjPmPT0_T1_.numbered_sgpr, 18
	.set _ZN7rocprim17ROCPRIM_400000_NS6detail25reduce_by_key_init_kernelINS1_19lookback_scan_stateINS0_5tupleIJjiEEELb1ELb1EEEiNS1_16block_id_wrapperIjLb1EEEEEvT_jbjPmPT0_T1_.num_named_barrier, 0
	.set _ZN7rocprim17ROCPRIM_400000_NS6detail25reduce_by_key_init_kernelINS1_19lookback_scan_stateINS0_5tupleIJjiEEELb1ELb1EEEiNS1_16block_id_wrapperIjLb1EEEEEvT_jbjPmPT0_T1_.private_seg_size, 0
	.set _ZN7rocprim17ROCPRIM_400000_NS6detail25reduce_by_key_init_kernelINS1_19lookback_scan_stateINS0_5tupleIJjiEEELb1ELb1EEEiNS1_16block_id_wrapperIjLb1EEEEEvT_jbjPmPT0_T1_.uses_vcc, 1
	.set _ZN7rocprim17ROCPRIM_400000_NS6detail25reduce_by_key_init_kernelINS1_19lookback_scan_stateINS0_5tupleIJjiEEELb1ELb1EEEiNS1_16block_id_wrapperIjLb1EEEEEvT_jbjPmPT0_T1_.uses_flat_scratch, 0
	.set _ZN7rocprim17ROCPRIM_400000_NS6detail25reduce_by_key_init_kernelINS1_19lookback_scan_stateINS0_5tupleIJjiEEELb1ELb1EEEiNS1_16block_id_wrapperIjLb1EEEEEvT_jbjPmPT0_T1_.has_dyn_sized_stack, 0
	.set _ZN7rocprim17ROCPRIM_400000_NS6detail25reduce_by_key_init_kernelINS1_19lookback_scan_stateINS0_5tupleIJjiEEELb1ELb1EEEiNS1_16block_id_wrapperIjLb1EEEEEvT_jbjPmPT0_T1_.has_recursion, 0
	.set _ZN7rocprim17ROCPRIM_400000_NS6detail25reduce_by_key_init_kernelINS1_19lookback_scan_stateINS0_5tupleIJjiEEELb1ELb1EEEiNS1_16block_id_wrapperIjLb1EEEEEvT_jbjPmPT0_T1_.has_indirect_call, 0
	.section	.AMDGPU.csdata,"",@progbits
; Kernel info:
; codeLenInByte = 644
; TotalNumSgprs: 20
; NumVgprs: 8
; ScratchSize: 0
; MemoryBound: 0
; FloatMode: 240
; IeeeMode: 1
; LDSByteSize: 0 bytes/workgroup (compile time only)
; SGPRBlocks: 0
; VGPRBlocks: 0
; NumSGPRsForWavesPerEU: 20
; NumVGPRsForWavesPerEU: 8
; Occupancy: 16
; WaveLimiterHint : 0
; COMPUTE_PGM_RSRC2:SCRATCH_EN: 0
; COMPUTE_PGM_RSRC2:USER_SGPR: 6
; COMPUTE_PGM_RSRC2:TRAP_HANDLER: 0
; COMPUTE_PGM_RSRC2:TGID_X_EN: 1
; COMPUTE_PGM_RSRC2:TGID_Y_EN: 0
; COMPUTE_PGM_RSRC2:TGID_Z_EN: 0
; COMPUTE_PGM_RSRC2:TIDIG_COMP_CNT: 0
	.section	.text._ZN7rocprim17ROCPRIM_400000_NS6detail17trampoline_kernelINS0_14default_configENS1_29reduce_by_key_config_selectorIiiN6thrust23THRUST_200600_302600_NS4plusIiEEEEZZNS1_33reduce_by_key_impl_wrapped_configILNS1_25lookback_scan_determinismE0ES3_S9_NS6_18transform_iteratorI25linear_index_to_row_indexIiENS6_17counting_iteratorIiNS6_11use_defaultESG_SG_EESG_SG_EENS6_6detail15normal_iteratorINS6_10device_ptrIiEEEESN_SN_PmS8_NS6_8equal_toIiEEEE10hipError_tPvRmT2_T3_mT4_T5_T6_T7_T8_P12ihipStream_tbENKUlT_T0_E_clISt17integral_constantIbLb1EES18_EEDaS13_S14_EUlS13_E_NS1_11comp_targetILNS1_3genE0ELNS1_11target_archE4294967295ELNS1_3gpuE0ELNS1_3repE0EEENS1_30default_config_static_selectorELNS0_4arch9wavefront6targetE0EEEvT1_,"axG",@progbits,_ZN7rocprim17ROCPRIM_400000_NS6detail17trampoline_kernelINS0_14default_configENS1_29reduce_by_key_config_selectorIiiN6thrust23THRUST_200600_302600_NS4plusIiEEEEZZNS1_33reduce_by_key_impl_wrapped_configILNS1_25lookback_scan_determinismE0ES3_S9_NS6_18transform_iteratorI25linear_index_to_row_indexIiENS6_17counting_iteratorIiNS6_11use_defaultESG_SG_EESG_SG_EENS6_6detail15normal_iteratorINS6_10device_ptrIiEEEESN_SN_PmS8_NS6_8equal_toIiEEEE10hipError_tPvRmT2_T3_mT4_T5_T6_T7_T8_P12ihipStream_tbENKUlT_T0_E_clISt17integral_constantIbLb1EES18_EEDaS13_S14_EUlS13_E_NS1_11comp_targetILNS1_3genE0ELNS1_11target_archE4294967295ELNS1_3gpuE0ELNS1_3repE0EEENS1_30default_config_static_selectorELNS0_4arch9wavefront6targetE0EEEvT1_,comdat
	.protected	_ZN7rocprim17ROCPRIM_400000_NS6detail17trampoline_kernelINS0_14default_configENS1_29reduce_by_key_config_selectorIiiN6thrust23THRUST_200600_302600_NS4plusIiEEEEZZNS1_33reduce_by_key_impl_wrapped_configILNS1_25lookback_scan_determinismE0ES3_S9_NS6_18transform_iteratorI25linear_index_to_row_indexIiENS6_17counting_iteratorIiNS6_11use_defaultESG_SG_EESG_SG_EENS6_6detail15normal_iteratorINS6_10device_ptrIiEEEESN_SN_PmS8_NS6_8equal_toIiEEEE10hipError_tPvRmT2_T3_mT4_T5_T6_T7_T8_P12ihipStream_tbENKUlT_T0_E_clISt17integral_constantIbLb1EES18_EEDaS13_S14_EUlS13_E_NS1_11comp_targetILNS1_3genE0ELNS1_11target_archE4294967295ELNS1_3gpuE0ELNS1_3repE0EEENS1_30default_config_static_selectorELNS0_4arch9wavefront6targetE0EEEvT1_ ; -- Begin function _ZN7rocprim17ROCPRIM_400000_NS6detail17trampoline_kernelINS0_14default_configENS1_29reduce_by_key_config_selectorIiiN6thrust23THRUST_200600_302600_NS4plusIiEEEEZZNS1_33reduce_by_key_impl_wrapped_configILNS1_25lookback_scan_determinismE0ES3_S9_NS6_18transform_iteratorI25linear_index_to_row_indexIiENS6_17counting_iteratorIiNS6_11use_defaultESG_SG_EESG_SG_EENS6_6detail15normal_iteratorINS6_10device_ptrIiEEEESN_SN_PmS8_NS6_8equal_toIiEEEE10hipError_tPvRmT2_T3_mT4_T5_T6_T7_T8_P12ihipStream_tbENKUlT_T0_E_clISt17integral_constantIbLb1EES18_EEDaS13_S14_EUlS13_E_NS1_11comp_targetILNS1_3genE0ELNS1_11target_archE4294967295ELNS1_3gpuE0ELNS1_3repE0EEENS1_30default_config_static_selectorELNS0_4arch9wavefront6targetE0EEEvT1_
	.globl	_ZN7rocprim17ROCPRIM_400000_NS6detail17trampoline_kernelINS0_14default_configENS1_29reduce_by_key_config_selectorIiiN6thrust23THRUST_200600_302600_NS4plusIiEEEEZZNS1_33reduce_by_key_impl_wrapped_configILNS1_25lookback_scan_determinismE0ES3_S9_NS6_18transform_iteratorI25linear_index_to_row_indexIiENS6_17counting_iteratorIiNS6_11use_defaultESG_SG_EESG_SG_EENS6_6detail15normal_iteratorINS6_10device_ptrIiEEEESN_SN_PmS8_NS6_8equal_toIiEEEE10hipError_tPvRmT2_T3_mT4_T5_T6_T7_T8_P12ihipStream_tbENKUlT_T0_E_clISt17integral_constantIbLb1EES18_EEDaS13_S14_EUlS13_E_NS1_11comp_targetILNS1_3genE0ELNS1_11target_archE4294967295ELNS1_3gpuE0ELNS1_3repE0EEENS1_30default_config_static_selectorELNS0_4arch9wavefront6targetE0EEEvT1_
	.p2align	8
	.type	_ZN7rocprim17ROCPRIM_400000_NS6detail17trampoline_kernelINS0_14default_configENS1_29reduce_by_key_config_selectorIiiN6thrust23THRUST_200600_302600_NS4plusIiEEEEZZNS1_33reduce_by_key_impl_wrapped_configILNS1_25lookback_scan_determinismE0ES3_S9_NS6_18transform_iteratorI25linear_index_to_row_indexIiENS6_17counting_iteratorIiNS6_11use_defaultESG_SG_EESG_SG_EENS6_6detail15normal_iteratorINS6_10device_ptrIiEEEESN_SN_PmS8_NS6_8equal_toIiEEEE10hipError_tPvRmT2_T3_mT4_T5_T6_T7_T8_P12ihipStream_tbENKUlT_T0_E_clISt17integral_constantIbLb1EES18_EEDaS13_S14_EUlS13_E_NS1_11comp_targetILNS1_3genE0ELNS1_11target_archE4294967295ELNS1_3gpuE0ELNS1_3repE0EEENS1_30default_config_static_selectorELNS0_4arch9wavefront6targetE0EEEvT1_,@function
_ZN7rocprim17ROCPRIM_400000_NS6detail17trampoline_kernelINS0_14default_configENS1_29reduce_by_key_config_selectorIiiN6thrust23THRUST_200600_302600_NS4plusIiEEEEZZNS1_33reduce_by_key_impl_wrapped_configILNS1_25lookback_scan_determinismE0ES3_S9_NS6_18transform_iteratorI25linear_index_to_row_indexIiENS6_17counting_iteratorIiNS6_11use_defaultESG_SG_EESG_SG_EENS6_6detail15normal_iteratorINS6_10device_ptrIiEEEESN_SN_PmS8_NS6_8equal_toIiEEEE10hipError_tPvRmT2_T3_mT4_T5_T6_T7_T8_P12ihipStream_tbENKUlT_T0_E_clISt17integral_constantIbLb1EES18_EEDaS13_S14_EUlS13_E_NS1_11comp_targetILNS1_3genE0ELNS1_11target_archE4294967295ELNS1_3gpuE0ELNS1_3repE0EEENS1_30default_config_static_selectorELNS0_4arch9wavefront6targetE0EEEvT1_: ; @_ZN7rocprim17ROCPRIM_400000_NS6detail17trampoline_kernelINS0_14default_configENS1_29reduce_by_key_config_selectorIiiN6thrust23THRUST_200600_302600_NS4plusIiEEEEZZNS1_33reduce_by_key_impl_wrapped_configILNS1_25lookback_scan_determinismE0ES3_S9_NS6_18transform_iteratorI25linear_index_to_row_indexIiENS6_17counting_iteratorIiNS6_11use_defaultESG_SG_EESG_SG_EENS6_6detail15normal_iteratorINS6_10device_ptrIiEEEESN_SN_PmS8_NS6_8equal_toIiEEEE10hipError_tPvRmT2_T3_mT4_T5_T6_T7_T8_P12ihipStream_tbENKUlT_T0_E_clISt17integral_constantIbLb1EES18_EEDaS13_S14_EUlS13_E_NS1_11comp_targetILNS1_3genE0ELNS1_11target_archE4294967295ELNS1_3gpuE0ELNS1_3repE0EEENS1_30default_config_static_selectorELNS0_4arch9wavefront6targetE0EEEvT1_
; %bb.0:
	.section	.rodata,"a",@progbits
	.p2align	6, 0x0
	.amdhsa_kernel _ZN7rocprim17ROCPRIM_400000_NS6detail17trampoline_kernelINS0_14default_configENS1_29reduce_by_key_config_selectorIiiN6thrust23THRUST_200600_302600_NS4plusIiEEEEZZNS1_33reduce_by_key_impl_wrapped_configILNS1_25lookback_scan_determinismE0ES3_S9_NS6_18transform_iteratorI25linear_index_to_row_indexIiENS6_17counting_iteratorIiNS6_11use_defaultESG_SG_EESG_SG_EENS6_6detail15normal_iteratorINS6_10device_ptrIiEEEESN_SN_PmS8_NS6_8equal_toIiEEEE10hipError_tPvRmT2_T3_mT4_T5_T6_T7_T8_P12ihipStream_tbENKUlT_T0_E_clISt17integral_constantIbLb1EES18_EEDaS13_S14_EUlS13_E_NS1_11comp_targetILNS1_3genE0ELNS1_11target_archE4294967295ELNS1_3gpuE0ELNS1_3repE0EEENS1_30default_config_static_selectorELNS0_4arch9wavefront6targetE0EEEvT1_
		.amdhsa_group_segment_fixed_size 0
		.amdhsa_private_segment_fixed_size 0
		.amdhsa_kernarg_size 120
		.amdhsa_user_sgpr_count 6
		.amdhsa_user_sgpr_private_segment_buffer 1
		.amdhsa_user_sgpr_dispatch_ptr 0
		.amdhsa_user_sgpr_queue_ptr 0
		.amdhsa_user_sgpr_kernarg_segment_ptr 1
		.amdhsa_user_sgpr_dispatch_id 0
		.amdhsa_user_sgpr_flat_scratch_init 0
		.amdhsa_user_sgpr_private_segment_size 0
		.amdhsa_wavefront_size32 1
		.amdhsa_uses_dynamic_stack 0
		.amdhsa_system_sgpr_private_segment_wavefront_offset 0
		.amdhsa_system_sgpr_workgroup_id_x 1
		.amdhsa_system_sgpr_workgroup_id_y 0
		.amdhsa_system_sgpr_workgroup_id_z 0
		.amdhsa_system_sgpr_workgroup_info 0
		.amdhsa_system_vgpr_workitem_id 0
		.amdhsa_next_free_vgpr 1
		.amdhsa_next_free_sgpr 1
		.amdhsa_reserve_vcc 0
		.amdhsa_reserve_flat_scratch 0
		.amdhsa_float_round_mode_32 0
		.amdhsa_float_round_mode_16_64 0
		.amdhsa_float_denorm_mode_32 3
		.amdhsa_float_denorm_mode_16_64 3
		.amdhsa_dx10_clamp 1
		.amdhsa_ieee_mode 1
		.amdhsa_fp16_overflow 0
		.amdhsa_workgroup_processor_mode 1
		.amdhsa_memory_ordered 1
		.amdhsa_forward_progress 1
		.amdhsa_shared_vgpr_count 0
		.amdhsa_exception_fp_ieee_invalid_op 0
		.amdhsa_exception_fp_denorm_src 0
		.amdhsa_exception_fp_ieee_div_zero 0
		.amdhsa_exception_fp_ieee_overflow 0
		.amdhsa_exception_fp_ieee_underflow 0
		.amdhsa_exception_fp_ieee_inexact 0
		.amdhsa_exception_int_div_zero 0
	.end_amdhsa_kernel
	.section	.text._ZN7rocprim17ROCPRIM_400000_NS6detail17trampoline_kernelINS0_14default_configENS1_29reduce_by_key_config_selectorIiiN6thrust23THRUST_200600_302600_NS4plusIiEEEEZZNS1_33reduce_by_key_impl_wrapped_configILNS1_25lookback_scan_determinismE0ES3_S9_NS6_18transform_iteratorI25linear_index_to_row_indexIiENS6_17counting_iteratorIiNS6_11use_defaultESG_SG_EESG_SG_EENS6_6detail15normal_iteratorINS6_10device_ptrIiEEEESN_SN_PmS8_NS6_8equal_toIiEEEE10hipError_tPvRmT2_T3_mT4_T5_T6_T7_T8_P12ihipStream_tbENKUlT_T0_E_clISt17integral_constantIbLb1EES18_EEDaS13_S14_EUlS13_E_NS1_11comp_targetILNS1_3genE0ELNS1_11target_archE4294967295ELNS1_3gpuE0ELNS1_3repE0EEENS1_30default_config_static_selectorELNS0_4arch9wavefront6targetE0EEEvT1_,"axG",@progbits,_ZN7rocprim17ROCPRIM_400000_NS6detail17trampoline_kernelINS0_14default_configENS1_29reduce_by_key_config_selectorIiiN6thrust23THRUST_200600_302600_NS4plusIiEEEEZZNS1_33reduce_by_key_impl_wrapped_configILNS1_25lookback_scan_determinismE0ES3_S9_NS6_18transform_iteratorI25linear_index_to_row_indexIiENS6_17counting_iteratorIiNS6_11use_defaultESG_SG_EESG_SG_EENS6_6detail15normal_iteratorINS6_10device_ptrIiEEEESN_SN_PmS8_NS6_8equal_toIiEEEE10hipError_tPvRmT2_T3_mT4_T5_T6_T7_T8_P12ihipStream_tbENKUlT_T0_E_clISt17integral_constantIbLb1EES18_EEDaS13_S14_EUlS13_E_NS1_11comp_targetILNS1_3genE0ELNS1_11target_archE4294967295ELNS1_3gpuE0ELNS1_3repE0EEENS1_30default_config_static_selectorELNS0_4arch9wavefront6targetE0EEEvT1_,comdat
.Lfunc_end21:
	.size	_ZN7rocprim17ROCPRIM_400000_NS6detail17trampoline_kernelINS0_14default_configENS1_29reduce_by_key_config_selectorIiiN6thrust23THRUST_200600_302600_NS4plusIiEEEEZZNS1_33reduce_by_key_impl_wrapped_configILNS1_25lookback_scan_determinismE0ES3_S9_NS6_18transform_iteratorI25linear_index_to_row_indexIiENS6_17counting_iteratorIiNS6_11use_defaultESG_SG_EESG_SG_EENS6_6detail15normal_iteratorINS6_10device_ptrIiEEEESN_SN_PmS8_NS6_8equal_toIiEEEE10hipError_tPvRmT2_T3_mT4_T5_T6_T7_T8_P12ihipStream_tbENKUlT_T0_E_clISt17integral_constantIbLb1EES18_EEDaS13_S14_EUlS13_E_NS1_11comp_targetILNS1_3genE0ELNS1_11target_archE4294967295ELNS1_3gpuE0ELNS1_3repE0EEENS1_30default_config_static_selectorELNS0_4arch9wavefront6targetE0EEEvT1_, .Lfunc_end21-_ZN7rocprim17ROCPRIM_400000_NS6detail17trampoline_kernelINS0_14default_configENS1_29reduce_by_key_config_selectorIiiN6thrust23THRUST_200600_302600_NS4plusIiEEEEZZNS1_33reduce_by_key_impl_wrapped_configILNS1_25lookback_scan_determinismE0ES3_S9_NS6_18transform_iteratorI25linear_index_to_row_indexIiENS6_17counting_iteratorIiNS6_11use_defaultESG_SG_EESG_SG_EENS6_6detail15normal_iteratorINS6_10device_ptrIiEEEESN_SN_PmS8_NS6_8equal_toIiEEEE10hipError_tPvRmT2_T3_mT4_T5_T6_T7_T8_P12ihipStream_tbENKUlT_T0_E_clISt17integral_constantIbLb1EES18_EEDaS13_S14_EUlS13_E_NS1_11comp_targetILNS1_3genE0ELNS1_11target_archE4294967295ELNS1_3gpuE0ELNS1_3repE0EEENS1_30default_config_static_selectorELNS0_4arch9wavefront6targetE0EEEvT1_
                                        ; -- End function
	.set _ZN7rocprim17ROCPRIM_400000_NS6detail17trampoline_kernelINS0_14default_configENS1_29reduce_by_key_config_selectorIiiN6thrust23THRUST_200600_302600_NS4plusIiEEEEZZNS1_33reduce_by_key_impl_wrapped_configILNS1_25lookback_scan_determinismE0ES3_S9_NS6_18transform_iteratorI25linear_index_to_row_indexIiENS6_17counting_iteratorIiNS6_11use_defaultESG_SG_EESG_SG_EENS6_6detail15normal_iteratorINS6_10device_ptrIiEEEESN_SN_PmS8_NS6_8equal_toIiEEEE10hipError_tPvRmT2_T3_mT4_T5_T6_T7_T8_P12ihipStream_tbENKUlT_T0_E_clISt17integral_constantIbLb1EES18_EEDaS13_S14_EUlS13_E_NS1_11comp_targetILNS1_3genE0ELNS1_11target_archE4294967295ELNS1_3gpuE0ELNS1_3repE0EEENS1_30default_config_static_selectorELNS0_4arch9wavefront6targetE0EEEvT1_.num_vgpr, 0
	.set _ZN7rocprim17ROCPRIM_400000_NS6detail17trampoline_kernelINS0_14default_configENS1_29reduce_by_key_config_selectorIiiN6thrust23THRUST_200600_302600_NS4plusIiEEEEZZNS1_33reduce_by_key_impl_wrapped_configILNS1_25lookback_scan_determinismE0ES3_S9_NS6_18transform_iteratorI25linear_index_to_row_indexIiENS6_17counting_iteratorIiNS6_11use_defaultESG_SG_EESG_SG_EENS6_6detail15normal_iteratorINS6_10device_ptrIiEEEESN_SN_PmS8_NS6_8equal_toIiEEEE10hipError_tPvRmT2_T3_mT4_T5_T6_T7_T8_P12ihipStream_tbENKUlT_T0_E_clISt17integral_constantIbLb1EES18_EEDaS13_S14_EUlS13_E_NS1_11comp_targetILNS1_3genE0ELNS1_11target_archE4294967295ELNS1_3gpuE0ELNS1_3repE0EEENS1_30default_config_static_selectorELNS0_4arch9wavefront6targetE0EEEvT1_.num_agpr, 0
	.set _ZN7rocprim17ROCPRIM_400000_NS6detail17trampoline_kernelINS0_14default_configENS1_29reduce_by_key_config_selectorIiiN6thrust23THRUST_200600_302600_NS4plusIiEEEEZZNS1_33reduce_by_key_impl_wrapped_configILNS1_25lookback_scan_determinismE0ES3_S9_NS6_18transform_iteratorI25linear_index_to_row_indexIiENS6_17counting_iteratorIiNS6_11use_defaultESG_SG_EESG_SG_EENS6_6detail15normal_iteratorINS6_10device_ptrIiEEEESN_SN_PmS8_NS6_8equal_toIiEEEE10hipError_tPvRmT2_T3_mT4_T5_T6_T7_T8_P12ihipStream_tbENKUlT_T0_E_clISt17integral_constantIbLb1EES18_EEDaS13_S14_EUlS13_E_NS1_11comp_targetILNS1_3genE0ELNS1_11target_archE4294967295ELNS1_3gpuE0ELNS1_3repE0EEENS1_30default_config_static_selectorELNS0_4arch9wavefront6targetE0EEEvT1_.numbered_sgpr, 0
	.set _ZN7rocprim17ROCPRIM_400000_NS6detail17trampoline_kernelINS0_14default_configENS1_29reduce_by_key_config_selectorIiiN6thrust23THRUST_200600_302600_NS4plusIiEEEEZZNS1_33reduce_by_key_impl_wrapped_configILNS1_25lookback_scan_determinismE0ES3_S9_NS6_18transform_iteratorI25linear_index_to_row_indexIiENS6_17counting_iteratorIiNS6_11use_defaultESG_SG_EESG_SG_EENS6_6detail15normal_iteratorINS6_10device_ptrIiEEEESN_SN_PmS8_NS6_8equal_toIiEEEE10hipError_tPvRmT2_T3_mT4_T5_T6_T7_T8_P12ihipStream_tbENKUlT_T0_E_clISt17integral_constantIbLb1EES18_EEDaS13_S14_EUlS13_E_NS1_11comp_targetILNS1_3genE0ELNS1_11target_archE4294967295ELNS1_3gpuE0ELNS1_3repE0EEENS1_30default_config_static_selectorELNS0_4arch9wavefront6targetE0EEEvT1_.num_named_barrier, 0
	.set _ZN7rocprim17ROCPRIM_400000_NS6detail17trampoline_kernelINS0_14default_configENS1_29reduce_by_key_config_selectorIiiN6thrust23THRUST_200600_302600_NS4plusIiEEEEZZNS1_33reduce_by_key_impl_wrapped_configILNS1_25lookback_scan_determinismE0ES3_S9_NS6_18transform_iteratorI25linear_index_to_row_indexIiENS6_17counting_iteratorIiNS6_11use_defaultESG_SG_EESG_SG_EENS6_6detail15normal_iteratorINS6_10device_ptrIiEEEESN_SN_PmS8_NS6_8equal_toIiEEEE10hipError_tPvRmT2_T3_mT4_T5_T6_T7_T8_P12ihipStream_tbENKUlT_T0_E_clISt17integral_constantIbLb1EES18_EEDaS13_S14_EUlS13_E_NS1_11comp_targetILNS1_3genE0ELNS1_11target_archE4294967295ELNS1_3gpuE0ELNS1_3repE0EEENS1_30default_config_static_selectorELNS0_4arch9wavefront6targetE0EEEvT1_.private_seg_size, 0
	.set _ZN7rocprim17ROCPRIM_400000_NS6detail17trampoline_kernelINS0_14default_configENS1_29reduce_by_key_config_selectorIiiN6thrust23THRUST_200600_302600_NS4plusIiEEEEZZNS1_33reduce_by_key_impl_wrapped_configILNS1_25lookback_scan_determinismE0ES3_S9_NS6_18transform_iteratorI25linear_index_to_row_indexIiENS6_17counting_iteratorIiNS6_11use_defaultESG_SG_EESG_SG_EENS6_6detail15normal_iteratorINS6_10device_ptrIiEEEESN_SN_PmS8_NS6_8equal_toIiEEEE10hipError_tPvRmT2_T3_mT4_T5_T6_T7_T8_P12ihipStream_tbENKUlT_T0_E_clISt17integral_constantIbLb1EES18_EEDaS13_S14_EUlS13_E_NS1_11comp_targetILNS1_3genE0ELNS1_11target_archE4294967295ELNS1_3gpuE0ELNS1_3repE0EEENS1_30default_config_static_selectorELNS0_4arch9wavefront6targetE0EEEvT1_.uses_vcc, 0
	.set _ZN7rocprim17ROCPRIM_400000_NS6detail17trampoline_kernelINS0_14default_configENS1_29reduce_by_key_config_selectorIiiN6thrust23THRUST_200600_302600_NS4plusIiEEEEZZNS1_33reduce_by_key_impl_wrapped_configILNS1_25lookback_scan_determinismE0ES3_S9_NS6_18transform_iteratorI25linear_index_to_row_indexIiENS6_17counting_iteratorIiNS6_11use_defaultESG_SG_EESG_SG_EENS6_6detail15normal_iteratorINS6_10device_ptrIiEEEESN_SN_PmS8_NS6_8equal_toIiEEEE10hipError_tPvRmT2_T3_mT4_T5_T6_T7_T8_P12ihipStream_tbENKUlT_T0_E_clISt17integral_constantIbLb1EES18_EEDaS13_S14_EUlS13_E_NS1_11comp_targetILNS1_3genE0ELNS1_11target_archE4294967295ELNS1_3gpuE0ELNS1_3repE0EEENS1_30default_config_static_selectorELNS0_4arch9wavefront6targetE0EEEvT1_.uses_flat_scratch, 0
	.set _ZN7rocprim17ROCPRIM_400000_NS6detail17trampoline_kernelINS0_14default_configENS1_29reduce_by_key_config_selectorIiiN6thrust23THRUST_200600_302600_NS4plusIiEEEEZZNS1_33reduce_by_key_impl_wrapped_configILNS1_25lookback_scan_determinismE0ES3_S9_NS6_18transform_iteratorI25linear_index_to_row_indexIiENS6_17counting_iteratorIiNS6_11use_defaultESG_SG_EESG_SG_EENS6_6detail15normal_iteratorINS6_10device_ptrIiEEEESN_SN_PmS8_NS6_8equal_toIiEEEE10hipError_tPvRmT2_T3_mT4_T5_T6_T7_T8_P12ihipStream_tbENKUlT_T0_E_clISt17integral_constantIbLb1EES18_EEDaS13_S14_EUlS13_E_NS1_11comp_targetILNS1_3genE0ELNS1_11target_archE4294967295ELNS1_3gpuE0ELNS1_3repE0EEENS1_30default_config_static_selectorELNS0_4arch9wavefront6targetE0EEEvT1_.has_dyn_sized_stack, 0
	.set _ZN7rocprim17ROCPRIM_400000_NS6detail17trampoline_kernelINS0_14default_configENS1_29reduce_by_key_config_selectorIiiN6thrust23THRUST_200600_302600_NS4plusIiEEEEZZNS1_33reduce_by_key_impl_wrapped_configILNS1_25lookback_scan_determinismE0ES3_S9_NS6_18transform_iteratorI25linear_index_to_row_indexIiENS6_17counting_iteratorIiNS6_11use_defaultESG_SG_EESG_SG_EENS6_6detail15normal_iteratorINS6_10device_ptrIiEEEESN_SN_PmS8_NS6_8equal_toIiEEEE10hipError_tPvRmT2_T3_mT4_T5_T6_T7_T8_P12ihipStream_tbENKUlT_T0_E_clISt17integral_constantIbLb1EES18_EEDaS13_S14_EUlS13_E_NS1_11comp_targetILNS1_3genE0ELNS1_11target_archE4294967295ELNS1_3gpuE0ELNS1_3repE0EEENS1_30default_config_static_selectorELNS0_4arch9wavefront6targetE0EEEvT1_.has_recursion, 0
	.set _ZN7rocprim17ROCPRIM_400000_NS6detail17trampoline_kernelINS0_14default_configENS1_29reduce_by_key_config_selectorIiiN6thrust23THRUST_200600_302600_NS4plusIiEEEEZZNS1_33reduce_by_key_impl_wrapped_configILNS1_25lookback_scan_determinismE0ES3_S9_NS6_18transform_iteratorI25linear_index_to_row_indexIiENS6_17counting_iteratorIiNS6_11use_defaultESG_SG_EESG_SG_EENS6_6detail15normal_iteratorINS6_10device_ptrIiEEEESN_SN_PmS8_NS6_8equal_toIiEEEE10hipError_tPvRmT2_T3_mT4_T5_T6_T7_T8_P12ihipStream_tbENKUlT_T0_E_clISt17integral_constantIbLb1EES18_EEDaS13_S14_EUlS13_E_NS1_11comp_targetILNS1_3genE0ELNS1_11target_archE4294967295ELNS1_3gpuE0ELNS1_3repE0EEENS1_30default_config_static_selectorELNS0_4arch9wavefront6targetE0EEEvT1_.has_indirect_call, 0
	.section	.AMDGPU.csdata,"",@progbits
; Kernel info:
; codeLenInByte = 0
; TotalNumSgprs: 0
; NumVgprs: 0
; ScratchSize: 0
; MemoryBound: 0
; FloatMode: 240
; IeeeMode: 1
; LDSByteSize: 0 bytes/workgroup (compile time only)
; SGPRBlocks: 0
; VGPRBlocks: 0
; NumSGPRsForWavesPerEU: 1
; NumVGPRsForWavesPerEU: 1
; Occupancy: 16
; WaveLimiterHint : 0
; COMPUTE_PGM_RSRC2:SCRATCH_EN: 0
; COMPUTE_PGM_RSRC2:USER_SGPR: 6
; COMPUTE_PGM_RSRC2:TRAP_HANDLER: 0
; COMPUTE_PGM_RSRC2:TGID_X_EN: 1
; COMPUTE_PGM_RSRC2:TGID_Y_EN: 0
; COMPUTE_PGM_RSRC2:TGID_Z_EN: 0
; COMPUTE_PGM_RSRC2:TIDIG_COMP_CNT: 0
	.section	.text._ZN7rocprim17ROCPRIM_400000_NS6detail17trampoline_kernelINS0_14default_configENS1_29reduce_by_key_config_selectorIiiN6thrust23THRUST_200600_302600_NS4plusIiEEEEZZNS1_33reduce_by_key_impl_wrapped_configILNS1_25lookback_scan_determinismE0ES3_S9_NS6_18transform_iteratorI25linear_index_to_row_indexIiENS6_17counting_iteratorIiNS6_11use_defaultESG_SG_EESG_SG_EENS6_6detail15normal_iteratorINS6_10device_ptrIiEEEESN_SN_PmS8_NS6_8equal_toIiEEEE10hipError_tPvRmT2_T3_mT4_T5_T6_T7_T8_P12ihipStream_tbENKUlT_T0_E_clISt17integral_constantIbLb1EES18_EEDaS13_S14_EUlS13_E_NS1_11comp_targetILNS1_3genE5ELNS1_11target_archE942ELNS1_3gpuE9ELNS1_3repE0EEENS1_30default_config_static_selectorELNS0_4arch9wavefront6targetE0EEEvT1_,"axG",@progbits,_ZN7rocprim17ROCPRIM_400000_NS6detail17trampoline_kernelINS0_14default_configENS1_29reduce_by_key_config_selectorIiiN6thrust23THRUST_200600_302600_NS4plusIiEEEEZZNS1_33reduce_by_key_impl_wrapped_configILNS1_25lookback_scan_determinismE0ES3_S9_NS6_18transform_iteratorI25linear_index_to_row_indexIiENS6_17counting_iteratorIiNS6_11use_defaultESG_SG_EESG_SG_EENS6_6detail15normal_iteratorINS6_10device_ptrIiEEEESN_SN_PmS8_NS6_8equal_toIiEEEE10hipError_tPvRmT2_T3_mT4_T5_T6_T7_T8_P12ihipStream_tbENKUlT_T0_E_clISt17integral_constantIbLb1EES18_EEDaS13_S14_EUlS13_E_NS1_11comp_targetILNS1_3genE5ELNS1_11target_archE942ELNS1_3gpuE9ELNS1_3repE0EEENS1_30default_config_static_selectorELNS0_4arch9wavefront6targetE0EEEvT1_,comdat
	.protected	_ZN7rocprim17ROCPRIM_400000_NS6detail17trampoline_kernelINS0_14default_configENS1_29reduce_by_key_config_selectorIiiN6thrust23THRUST_200600_302600_NS4plusIiEEEEZZNS1_33reduce_by_key_impl_wrapped_configILNS1_25lookback_scan_determinismE0ES3_S9_NS6_18transform_iteratorI25linear_index_to_row_indexIiENS6_17counting_iteratorIiNS6_11use_defaultESG_SG_EESG_SG_EENS6_6detail15normal_iteratorINS6_10device_ptrIiEEEESN_SN_PmS8_NS6_8equal_toIiEEEE10hipError_tPvRmT2_T3_mT4_T5_T6_T7_T8_P12ihipStream_tbENKUlT_T0_E_clISt17integral_constantIbLb1EES18_EEDaS13_S14_EUlS13_E_NS1_11comp_targetILNS1_3genE5ELNS1_11target_archE942ELNS1_3gpuE9ELNS1_3repE0EEENS1_30default_config_static_selectorELNS0_4arch9wavefront6targetE0EEEvT1_ ; -- Begin function _ZN7rocprim17ROCPRIM_400000_NS6detail17trampoline_kernelINS0_14default_configENS1_29reduce_by_key_config_selectorIiiN6thrust23THRUST_200600_302600_NS4plusIiEEEEZZNS1_33reduce_by_key_impl_wrapped_configILNS1_25lookback_scan_determinismE0ES3_S9_NS6_18transform_iteratorI25linear_index_to_row_indexIiENS6_17counting_iteratorIiNS6_11use_defaultESG_SG_EESG_SG_EENS6_6detail15normal_iteratorINS6_10device_ptrIiEEEESN_SN_PmS8_NS6_8equal_toIiEEEE10hipError_tPvRmT2_T3_mT4_T5_T6_T7_T8_P12ihipStream_tbENKUlT_T0_E_clISt17integral_constantIbLb1EES18_EEDaS13_S14_EUlS13_E_NS1_11comp_targetILNS1_3genE5ELNS1_11target_archE942ELNS1_3gpuE9ELNS1_3repE0EEENS1_30default_config_static_selectorELNS0_4arch9wavefront6targetE0EEEvT1_
	.globl	_ZN7rocprim17ROCPRIM_400000_NS6detail17trampoline_kernelINS0_14default_configENS1_29reduce_by_key_config_selectorIiiN6thrust23THRUST_200600_302600_NS4plusIiEEEEZZNS1_33reduce_by_key_impl_wrapped_configILNS1_25lookback_scan_determinismE0ES3_S9_NS6_18transform_iteratorI25linear_index_to_row_indexIiENS6_17counting_iteratorIiNS6_11use_defaultESG_SG_EESG_SG_EENS6_6detail15normal_iteratorINS6_10device_ptrIiEEEESN_SN_PmS8_NS6_8equal_toIiEEEE10hipError_tPvRmT2_T3_mT4_T5_T6_T7_T8_P12ihipStream_tbENKUlT_T0_E_clISt17integral_constantIbLb1EES18_EEDaS13_S14_EUlS13_E_NS1_11comp_targetILNS1_3genE5ELNS1_11target_archE942ELNS1_3gpuE9ELNS1_3repE0EEENS1_30default_config_static_selectorELNS0_4arch9wavefront6targetE0EEEvT1_
	.p2align	8
	.type	_ZN7rocprim17ROCPRIM_400000_NS6detail17trampoline_kernelINS0_14default_configENS1_29reduce_by_key_config_selectorIiiN6thrust23THRUST_200600_302600_NS4plusIiEEEEZZNS1_33reduce_by_key_impl_wrapped_configILNS1_25lookback_scan_determinismE0ES3_S9_NS6_18transform_iteratorI25linear_index_to_row_indexIiENS6_17counting_iteratorIiNS6_11use_defaultESG_SG_EESG_SG_EENS6_6detail15normal_iteratorINS6_10device_ptrIiEEEESN_SN_PmS8_NS6_8equal_toIiEEEE10hipError_tPvRmT2_T3_mT4_T5_T6_T7_T8_P12ihipStream_tbENKUlT_T0_E_clISt17integral_constantIbLb1EES18_EEDaS13_S14_EUlS13_E_NS1_11comp_targetILNS1_3genE5ELNS1_11target_archE942ELNS1_3gpuE9ELNS1_3repE0EEENS1_30default_config_static_selectorELNS0_4arch9wavefront6targetE0EEEvT1_,@function
_ZN7rocprim17ROCPRIM_400000_NS6detail17trampoline_kernelINS0_14default_configENS1_29reduce_by_key_config_selectorIiiN6thrust23THRUST_200600_302600_NS4plusIiEEEEZZNS1_33reduce_by_key_impl_wrapped_configILNS1_25lookback_scan_determinismE0ES3_S9_NS6_18transform_iteratorI25linear_index_to_row_indexIiENS6_17counting_iteratorIiNS6_11use_defaultESG_SG_EESG_SG_EENS6_6detail15normal_iteratorINS6_10device_ptrIiEEEESN_SN_PmS8_NS6_8equal_toIiEEEE10hipError_tPvRmT2_T3_mT4_T5_T6_T7_T8_P12ihipStream_tbENKUlT_T0_E_clISt17integral_constantIbLb1EES18_EEDaS13_S14_EUlS13_E_NS1_11comp_targetILNS1_3genE5ELNS1_11target_archE942ELNS1_3gpuE9ELNS1_3repE0EEENS1_30default_config_static_selectorELNS0_4arch9wavefront6targetE0EEEvT1_: ; @_ZN7rocprim17ROCPRIM_400000_NS6detail17trampoline_kernelINS0_14default_configENS1_29reduce_by_key_config_selectorIiiN6thrust23THRUST_200600_302600_NS4plusIiEEEEZZNS1_33reduce_by_key_impl_wrapped_configILNS1_25lookback_scan_determinismE0ES3_S9_NS6_18transform_iteratorI25linear_index_to_row_indexIiENS6_17counting_iteratorIiNS6_11use_defaultESG_SG_EESG_SG_EENS6_6detail15normal_iteratorINS6_10device_ptrIiEEEESN_SN_PmS8_NS6_8equal_toIiEEEE10hipError_tPvRmT2_T3_mT4_T5_T6_T7_T8_P12ihipStream_tbENKUlT_T0_E_clISt17integral_constantIbLb1EES18_EEDaS13_S14_EUlS13_E_NS1_11comp_targetILNS1_3genE5ELNS1_11target_archE942ELNS1_3gpuE9ELNS1_3repE0EEENS1_30default_config_static_selectorELNS0_4arch9wavefront6targetE0EEEvT1_
; %bb.0:
	.section	.rodata,"a",@progbits
	.p2align	6, 0x0
	.amdhsa_kernel _ZN7rocprim17ROCPRIM_400000_NS6detail17trampoline_kernelINS0_14default_configENS1_29reduce_by_key_config_selectorIiiN6thrust23THRUST_200600_302600_NS4plusIiEEEEZZNS1_33reduce_by_key_impl_wrapped_configILNS1_25lookback_scan_determinismE0ES3_S9_NS6_18transform_iteratorI25linear_index_to_row_indexIiENS6_17counting_iteratorIiNS6_11use_defaultESG_SG_EESG_SG_EENS6_6detail15normal_iteratorINS6_10device_ptrIiEEEESN_SN_PmS8_NS6_8equal_toIiEEEE10hipError_tPvRmT2_T3_mT4_T5_T6_T7_T8_P12ihipStream_tbENKUlT_T0_E_clISt17integral_constantIbLb1EES18_EEDaS13_S14_EUlS13_E_NS1_11comp_targetILNS1_3genE5ELNS1_11target_archE942ELNS1_3gpuE9ELNS1_3repE0EEENS1_30default_config_static_selectorELNS0_4arch9wavefront6targetE0EEEvT1_
		.amdhsa_group_segment_fixed_size 0
		.amdhsa_private_segment_fixed_size 0
		.amdhsa_kernarg_size 120
		.amdhsa_user_sgpr_count 6
		.amdhsa_user_sgpr_private_segment_buffer 1
		.amdhsa_user_sgpr_dispatch_ptr 0
		.amdhsa_user_sgpr_queue_ptr 0
		.amdhsa_user_sgpr_kernarg_segment_ptr 1
		.amdhsa_user_sgpr_dispatch_id 0
		.amdhsa_user_sgpr_flat_scratch_init 0
		.amdhsa_user_sgpr_private_segment_size 0
		.amdhsa_wavefront_size32 1
		.amdhsa_uses_dynamic_stack 0
		.amdhsa_system_sgpr_private_segment_wavefront_offset 0
		.amdhsa_system_sgpr_workgroup_id_x 1
		.amdhsa_system_sgpr_workgroup_id_y 0
		.amdhsa_system_sgpr_workgroup_id_z 0
		.amdhsa_system_sgpr_workgroup_info 0
		.amdhsa_system_vgpr_workitem_id 0
		.amdhsa_next_free_vgpr 1
		.amdhsa_next_free_sgpr 1
		.amdhsa_reserve_vcc 0
		.amdhsa_reserve_flat_scratch 0
		.amdhsa_float_round_mode_32 0
		.amdhsa_float_round_mode_16_64 0
		.amdhsa_float_denorm_mode_32 3
		.amdhsa_float_denorm_mode_16_64 3
		.amdhsa_dx10_clamp 1
		.amdhsa_ieee_mode 1
		.amdhsa_fp16_overflow 0
		.amdhsa_workgroup_processor_mode 1
		.amdhsa_memory_ordered 1
		.amdhsa_forward_progress 1
		.amdhsa_shared_vgpr_count 0
		.amdhsa_exception_fp_ieee_invalid_op 0
		.amdhsa_exception_fp_denorm_src 0
		.amdhsa_exception_fp_ieee_div_zero 0
		.amdhsa_exception_fp_ieee_overflow 0
		.amdhsa_exception_fp_ieee_underflow 0
		.amdhsa_exception_fp_ieee_inexact 0
		.amdhsa_exception_int_div_zero 0
	.end_amdhsa_kernel
	.section	.text._ZN7rocprim17ROCPRIM_400000_NS6detail17trampoline_kernelINS0_14default_configENS1_29reduce_by_key_config_selectorIiiN6thrust23THRUST_200600_302600_NS4plusIiEEEEZZNS1_33reduce_by_key_impl_wrapped_configILNS1_25lookback_scan_determinismE0ES3_S9_NS6_18transform_iteratorI25linear_index_to_row_indexIiENS6_17counting_iteratorIiNS6_11use_defaultESG_SG_EESG_SG_EENS6_6detail15normal_iteratorINS6_10device_ptrIiEEEESN_SN_PmS8_NS6_8equal_toIiEEEE10hipError_tPvRmT2_T3_mT4_T5_T6_T7_T8_P12ihipStream_tbENKUlT_T0_E_clISt17integral_constantIbLb1EES18_EEDaS13_S14_EUlS13_E_NS1_11comp_targetILNS1_3genE5ELNS1_11target_archE942ELNS1_3gpuE9ELNS1_3repE0EEENS1_30default_config_static_selectorELNS0_4arch9wavefront6targetE0EEEvT1_,"axG",@progbits,_ZN7rocprim17ROCPRIM_400000_NS6detail17trampoline_kernelINS0_14default_configENS1_29reduce_by_key_config_selectorIiiN6thrust23THRUST_200600_302600_NS4plusIiEEEEZZNS1_33reduce_by_key_impl_wrapped_configILNS1_25lookback_scan_determinismE0ES3_S9_NS6_18transform_iteratorI25linear_index_to_row_indexIiENS6_17counting_iteratorIiNS6_11use_defaultESG_SG_EESG_SG_EENS6_6detail15normal_iteratorINS6_10device_ptrIiEEEESN_SN_PmS8_NS6_8equal_toIiEEEE10hipError_tPvRmT2_T3_mT4_T5_T6_T7_T8_P12ihipStream_tbENKUlT_T0_E_clISt17integral_constantIbLb1EES18_EEDaS13_S14_EUlS13_E_NS1_11comp_targetILNS1_3genE5ELNS1_11target_archE942ELNS1_3gpuE9ELNS1_3repE0EEENS1_30default_config_static_selectorELNS0_4arch9wavefront6targetE0EEEvT1_,comdat
.Lfunc_end22:
	.size	_ZN7rocprim17ROCPRIM_400000_NS6detail17trampoline_kernelINS0_14default_configENS1_29reduce_by_key_config_selectorIiiN6thrust23THRUST_200600_302600_NS4plusIiEEEEZZNS1_33reduce_by_key_impl_wrapped_configILNS1_25lookback_scan_determinismE0ES3_S9_NS6_18transform_iteratorI25linear_index_to_row_indexIiENS6_17counting_iteratorIiNS6_11use_defaultESG_SG_EESG_SG_EENS6_6detail15normal_iteratorINS6_10device_ptrIiEEEESN_SN_PmS8_NS6_8equal_toIiEEEE10hipError_tPvRmT2_T3_mT4_T5_T6_T7_T8_P12ihipStream_tbENKUlT_T0_E_clISt17integral_constantIbLb1EES18_EEDaS13_S14_EUlS13_E_NS1_11comp_targetILNS1_3genE5ELNS1_11target_archE942ELNS1_3gpuE9ELNS1_3repE0EEENS1_30default_config_static_selectorELNS0_4arch9wavefront6targetE0EEEvT1_, .Lfunc_end22-_ZN7rocprim17ROCPRIM_400000_NS6detail17trampoline_kernelINS0_14default_configENS1_29reduce_by_key_config_selectorIiiN6thrust23THRUST_200600_302600_NS4plusIiEEEEZZNS1_33reduce_by_key_impl_wrapped_configILNS1_25lookback_scan_determinismE0ES3_S9_NS6_18transform_iteratorI25linear_index_to_row_indexIiENS6_17counting_iteratorIiNS6_11use_defaultESG_SG_EESG_SG_EENS6_6detail15normal_iteratorINS6_10device_ptrIiEEEESN_SN_PmS8_NS6_8equal_toIiEEEE10hipError_tPvRmT2_T3_mT4_T5_T6_T7_T8_P12ihipStream_tbENKUlT_T0_E_clISt17integral_constantIbLb1EES18_EEDaS13_S14_EUlS13_E_NS1_11comp_targetILNS1_3genE5ELNS1_11target_archE942ELNS1_3gpuE9ELNS1_3repE0EEENS1_30default_config_static_selectorELNS0_4arch9wavefront6targetE0EEEvT1_
                                        ; -- End function
	.set _ZN7rocprim17ROCPRIM_400000_NS6detail17trampoline_kernelINS0_14default_configENS1_29reduce_by_key_config_selectorIiiN6thrust23THRUST_200600_302600_NS4plusIiEEEEZZNS1_33reduce_by_key_impl_wrapped_configILNS1_25lookback_scan_determinismE0ES3_S9_NS6_18transform_iteratorI25linear_index_to_row_indexIiENS6_17counting_iteratorIiNS6_11use_defaultESG_SG_EESG_SG_EENS6_6detail15normal_iteratorINS6_10device_ptrIiEEEESN_SN_PmS8_NS6_8equal_toIiEEEE10hipError_tPvRmT2_T3_mT4_T5_T6_T7_T8_P12ihipStream_tbENKUlT_T0_E_clISt17integral_constantIbLb1EES18_EEDaS13_S14_EUlS13_E_NS1_11comp_targetILNS1_3genE5ELNS1_11target_archE942ELNS1_3gpuE9ELNS1_3repE0EEENS1_30default_config_static_selectorELNS0_4arch9wavefront6targetE0EEEvT1_.num_vgpr, 0
	.set _ZN7rocprim17ROCPRIM_400000_NS6detail17trampoline_kernelINS0_14default_configENS1_29reduce_by_key_config_selectorIiiN6thrust23THRUST_200600_302600_NS4plusIiEEEEZZNS1_33reduce_by_key_impl_wrapped_configILNS1_25lookback_scan_determinismE0ES3_S9_NS6_18transform_iteratorI25linear_index_to_row_indexIiENS6_17counting_iteratorIiNS6_11use_defaultESG_SG_EESG_SG_EENS6_6detail15normal_iteratorINS6_10device_ptrIiEEEESN_SN_PmS8_NS6_8equal_toIiEEEE10hipError_tPvRmT2_T3_mT4_T5_T6_T7_T8_P12ihipStream_tbENKUlT_T0_E_clISt17integral_constantIbLb1EES18_EEDaS13_S14_EUlS13_E_NS1_11comp_targetILNS1_3genE5ELNS1_11target_archE942ELNS1_3gpuE9ELNS1_3repE0EEENS1_30default_config_static_selectorELNS0_4arch9wavefront6targetE0EEEvT1_.num_agpr, 0
	.set _ZN7rocprim17ROCPRIM_400000_NS6detail17trampoline_kernelINS0_14default_configENS1_29reduce_by_key_config_selectorIiiN6thrust23THRUST_200600_302600_NS4plusIiEEEEZZNS1_33reduce_by_key_impl_wrapped_configILNS1_25lookback_scan_determinismE0ES3_S9_NS6_18transform_iteratorI25linear_index_to_row_indexIiENS6_17counting_iteratorIiNS6_11use_defaultESG_SG_EESG_SG_EENS6_6detail15normal_iteratorINS6_10device_ptrIiEEEESN_SN_PmS8_NS6_8equal_toIiEEEE10hipError_tPvRmT2_T3_mT4_T5_T6_T7_T8_P12ihipStream_tbENKUlT_T0_E_clISt17integral_constantIbLb1EES18_EEDaS13_S14_EUlS13_E_NS1_11comp_targetILNS1_3genE5ELNS1_11target_archE942ELNS1_3gpuE9ELNS1_3repE0EEENS1_30default_config_static_selectorELNS0_4arch9wavefront6targetE0EEEvT1_.numbered_sgpr, 0
	.set _ZN7rocprim17ROCPRIM_400000_NS6detail17trampoline_kernelINS0_14default_configENS1_29reduce_by_key_config_selectorIiiN6thrust23THRUST_200600_302600_NS4plusIiEEEEZZNS1_33reduce_by_key_impl_wrapped_configILNS1_25lookback_scan_determinismE0ES3_S9_NS6_18transform_iteratorI25linear_index_to_row_indexIiENS6_17counting_iteratorIiNS6_11use_defaultESG_SG_EESG_SG_EENS6_6detail15normal_iteratorINS6_10device_ptrIiEEEESN_SN_PmS8_NS6_8equal_toIiEEEE10hipError_tPvRmT2_T3_mT4_T5_T6_T7_T8_P12ihipStream_tbENKUlT_T0_E_clISt17integral_constantIbLb1EES18_EEDaS13_S14_EUlS13_E_NS1_11comp_targetILNS1_3genE5ELNS1_11target_archE942ELNS1_3gpuE9ELNS1_3repE0EEENS1_30default_config_static_selectorELNS0_4arch9wavefront6targetE0EEEvT1_.num_named_barrier, 0
	.set _ZN7rocprim17ROCPRIM_400000_NS6detail17trampoline_kernelINS0_14default_configENS1_29reduce_by_key_config_selectorIiiN6thrust23THRUST_200600_302600_NS4plusIiEEEEZZNS1_33reduce_by_key_impl_wrapped_configILNS1_25lookback_scan_determinismE0ES3_S9_NS6_18transform_iteratorI25linear_index_to_row_indexIiENS6_17counting_iteratorIiNS6_11use_defaultESG_SG_EESG_SG_EENS6_6detail15normal_iteratorINS6_10device_ptrIiEEEESN_SN_PmS8_NS6_8equal_toIiEEEE10hipError_tPvRmT2_T3_mT4_T5_T6_T7_T8_P12ihipStream_tbENKUlT_T0_E_clISt17integral_constantIbLb1EES18_EEDaS13_S14_EUlS13_E_NS1_11comp_targetILNS1_3genE5ELNS1_11target_archE942ELNS1_3gpuE9ELNS1_3repE0EEENS1_30default_config_static_selectorELNS0_4arch9wavefront6targetE0EEEvT1_.private_seg_size, 0
	.set _ZN7rocprim17ROCPRIM_400000_NS6detail17trampoline_kernelINS0_14default_configENS1_29reduce_by_key_config_selectorIiiN6thrust23THRUST_200600_302600_NS4plusIiEEEEZZNS1_33reduce_by_key_impl_wrapped_configILNS1_25lookback_scan_determinismE0ES3_S9_NS6_18transform_iteratorI25linear_index_to_row_indexIiENS6_17counting_iteratorIiNS6_11use_defaultESG_SG_EESG_SG_EENS6_6detail15normal_iteratorINS6_10device_ptrIiEEEESN_SN_PmS8_NS6_8equal_toIiEEEE10hipError_tPvRmT2_T3_mT4_T5_T6_T7_T8_P12ihipStream_tbENKUlT_T0_E_clISt17integral_constantIbLb1EES18_EEDaS13_S14_EUlS13_E_NS1_11comp_targetILNS1_3genE5ELNS1_11target_archE942ELNS1_3gpuE9ELNS1_3repE0EEENS1_30default_config_static_selectorELNS0_4arch9wavefront6targetE0EEEvT1_.uses_vcc, 0
	.set _ZN7rocprim17ROCPRIM_400000_NS6detail17trampoline_kernelINS0_14default_configENS1_29reduce_by_key_config_selectorIiiN6thrust23THRUST_200600_302600_NS4plusIiEEEEZZNS1_33reduce_by_key_impl_wrapped_configILNS1_25lookback_scan_determinismE0ES3_S9_NS6_18transform_iteratorI25linear_index_to_row_indexIiENS6_17counting_iteratorIiNS6_11use_defaultESG_SG_EESG_SG_EENS6_6detail15normal_iteratorINS6_10device_ptrIiEEEESN_SN_PmS8_NS6_8equal_toIiEEEE10hipError_tPvRmT2_T3_mT4_T5_T6_T7_T8_P12ihipStream_tbENKUlT_T0_E_clISt17integral_constantIbLb1EES18_EEDaS13_S14_EUlS13_E_NS1_11comp_targetILNS1_3genE5ELNS1_11target_archE942ELNS1_3gpuE9ELNS1_3repE0EEENS1_30default_config_static_selectorELNS0_4arch9wavefront6targetE0EEEvT1_.uses_flat_scratch, 0
	.set _ZN7rocprim17ROCPRIM_400000_NS6detail17trampoline_kernelINS0_14default_configENS1_29reduce_by_key_config_selectorIiiN6thrust23THRUST_200600_302600_NS4plusIiEEEEZZNS1_33reduce_by_key_impl_wrapped_configILNS1_25lookback_scan_determinismE0ES3_S9_NS6_18transform_iteratorI25linear_index_to_row_indexIiENS6_17counting_iteratorIiNS6_11use_defaultESG_SG_EESG_SG_EENS6_6detail15normal_iteratorINS6_10device_ptrIiEEEESN_SN_PmS8_NS6_8equal_toIiEEEE10hipError_tPvRmT2_T3_mT4_T5_T6_T7_T8_P12ihipStream_tbENKUlT_T0_E_clISt17integral_constantIbLb1EES18_EEDaS13_S14_EUlS13_E_NS1_11comp_targetILNS1_3genE5ELNS1_11target_archE942ELNS1_3gpuE9ELNS1_3repE0EEENS1_30default_config_static_selectorELNS0_4arch9wavefront6targetE0EEEvT1_.has_dyn_sized_stack, 0
	.set _ZN7rocprim17ROCPRIM_400000_NS6detail17trampoline_kernelINS0_14default_configENS1_29reduce_by_key_config_selectorIiiN6thrust23THRUST_200600_302600_NS4plusIiEEEEZZNS1_33reduce_by_key_impl_wrapped_configILNS1_25lookback_scan_determinismE0ES3_S9_NS6_18transform_iteratorI25linear_index_to_row_indexIiENS6_17counting_iteratorIiNS6_11use_defaultESG_SG_EESG_SG_EENS6_6detail15normal_iteratorINS6_10device_ptrIiEEEESN_SN_PmS8_NS6_8equal_toIiEEEE10hipError_tPvRmT2_T3_mT4_T5_T6_T7_T8_P12ihipStream_tbENKUlT_T0_E_clISt17integral_constantIbLb1EES18_EEDaS13_S14_EUlS13_E_NS1_11comp_targetILNS1_3genE5ELNS1_11target_archE942ELNS1_3gpuE9ELNS1_3repE0EEENS1_30default_config_static_selectorELNS0_4arch9wavefront6targetE0EEEvT1_.has_recursion, 0
	.set _ZN7rocprim17ROCPRIM_400000_NS6detail17trampoline_kernelINS0_14default_configENS1_29reduce_by_key_config_selectorIiiN6thrust23THRUST_200600_302600_NS4plusIiEEEEZZNS1_33reduce_by_key_impl_wrapped_configILNS1_25lookback_scan_determinismE0ES3_S9_NS6_18transform_iteratorI25linear_index_to_row_indexIiENS6_17counting_iteratorIiNS6_11use_defaultESG_SG_EESG_SG_EENS6_6detail15normal_iteratorINS6_10device_ptrIiEEEESN_SN_PmS8_NS6_8equal_toIiEEEE10hipError_tPvRmT2_T3_mT4_T5_T6_T7_T8_P12ihipStream_tbENKUlT_T0_E_clISt17integral_constantIbLb1EES18_EEDaS13_S14_EUlS13_E_NS1_11comp_targetILNS1_3genE5ELNS1_11target_archE942ELNS1_3gpuE9ELNS1_3repE0EEENS1_30default_config_static_selectorELNS0_4arch9wavefront6targetE0EEEvT1_.has_indirect_call, 0
	.section	.AMDGPU.csdata,"",@progbits
; Kernel info:
; codeLenInByte = 0
; TotalNumSgprs: 0
; NumVgprs: 0
; ScratchSize: 0
; MemoryBound: 0
; FloatMode: 240
; IeeeMode: 1
; LDSByteSize: 0 bytes/workgroup (compile time only)
; SGPRBlocks: 0
; VGPRBlocks: 0
; NumSGPRsForWavesPerEU: 1
; NumVGPRsForWavesPerEU: 1
; Occupancy: 16
; WaveLimiterHint : 0
; COMPUTE_PGM_RSRC2:SCRATCH_EN: 0
; COMPUTE_PGM_RSRC2:USER_SGPR: 6
; COMPUTE_PGM_RSRC2:TRAP_HANDLER: 0
; COMPUTE_PGM_RSRC2:TGID_X_EN: 1
; COMPUTE_PGM_RSRC2:TGID_Y_EN: 0
; COMPUTE_PGM_RSRC2:TGID_Z_EN: 0
; COMPUTE_PGM_RSRC2:TIDIG_COMP_CNT: 0
	.section	.text._ZN7rocprim17ROCPRIM_400000_NS6detail17trampoline_kernelINS0_14default_configENS1_29reduce_by_key_config_selectorIiiN6thrust23THRUST_200600_302600_NS4plusIiEEEEZZNS1_33reduce_by_key_impl_wrapped_configILNS1_25lookback_scan_determinismE0ES3_S9_NS6_18transform_iteratorI25linear_index_to_row_indexIiENS6_17counting_iteratorIiNS6_11use_defaultESG_SG_EESG_SG_EENS6_6detail15normal_iteratorINS6_10device_ptrIiEEEESN_SN_PmS8_NS6_8equal_toIiEEEE10hipError_tPvRmT2_T3_mT4_T5_T6_T7_T8_P12ihipStream_tbENKUlT_T0_E_clISt17integral_constantIbLb1EES18_EEDaS13_S14_EUlS13_E_NS1_11comp_targetILNS1_3genE4ELNS1_11target_archE910ELNS1_3gpuE8ELNS1_3repE0EEENS1_30default_config_static_selectorELNS0_4arch9wavefront6targetE0EEEvT1_,"axG",@progbits,_ZN7rocprim17ROCPRIM_400000_NS6detail17trampoline_kernelINS0_14default_configENS1_29reduce_by_key_config_selectorIiiN6thrust23THRUST_200600_302600_NS4plusIiEEEEZZNS1_33reduce_by_key_impl_wrapped_configILNS1_25lookback_scan_determinismE0ES3_S9_NS6_18transform_iteratorI25linear_index_to_row_indexIiENS6_17counting_iteratorIiNS6_11use_defaultESG_SG_EESG_SG_EENS6_6detail15normal_iteratorINS6_10device_ptrIiEEEESN_SN_PmS8_NS6_8equal_toIiEEEE10hipError_tPvRmT2_T3_mT4_T5_T6_T7_T8_P12ihipStream_tbENKUlT_T0_E_clISt17integral_constantIbLb1EES18_EEDaS13_S14_EUlS13_E_NS1_11comp_targetILNS1_3genE4ELNS1_11target_archE910ELNS1_3gpuE8ELNS1_3repE0EEENS1_30default_config_static_selectorELNS0_4arch9wavefront6targetE0EEEvT1_,comdat
	.protected	_ZN7rocprim17ROCPRIM_400000_NS6detail17trampoline_kernelINS0_14default_configENS1_29reduce_by_key_config_selectorIiiN6thrust23THRUST_200600_302600_NS4plusIiEEEEZZNS1_33reduce_by_key_impl_wrapped_configILNS1_25lookback_scan_determinismE0ES3_S9_NS6_18transform_iteratorI25linear_index_to_row_indexIiENS6_17counting_iteratorIiNS6_11use_defaultESG_SG_EESG_SG_EENS6_6detail15normal_iteratorINS6_10device_ptrIiEEEESN_SN_PmS8_NS6_8equal_toIiEEEE10hipError_tPvRmT2_T3_mT4_T5_T6_T7_T8_P12ihipStream_tbENKUlT_T0_E_clISt17integral_constantIbLb1EES18_EEDaS13_S14_EUlS13_E_NS1_11comp_targetILNS1_3genE4ELNS1_11target_archE910ELNS1_3gpuE8ELNS1_3repE0EEENS1_30default_config_static_selectorELNS0_4arch9wavefront6targetE0EEEvT1_ ; -- Begin function _ZN7rocprim17ROCPRIM_400000_NS6detail17trampoline_kernelINS0_14default_configENS1_29reduce_by_key_config_selectorIiiN6thrust23THRUST_200600_302600_NS4plusIiEEEEZZNS1_33reduce_by_key_impl_wrapped_configILNS1_25lookback_scan_determinismE0ES3_S9_NS6_18transform_iteratorI25linear_index_to_row_indexIiENS6_17counting_iteratorIiNS6_11use_defaultESG_SG_EESG_SG_EENS6_6detail15normal_iteratorINS6_10device_ptrIiEEEESN_SN_PmS8_NS6_8equal_toIiEEEE10hipError_tPvRmT2_T3_mT4_T5_T6_T7_T8_P12ihipStream_tbENKUlT_T0_E_clISt17integral_constantIbLb1EES18_EEDaS13_S14_EUlS13_E_NS1_11comp_targetILNS1_3genE4ELNS1_11target_archE910ELNS1_3gpuE8ELNS1_3repE0EEENS1_30default_config_static_selectorELNS0_4arch9wavefront6targetE0EEEvT1_
	.globl	_ZN7rocprim17ROCPRIM_400000_NS6detail17trampoline_kernelINS0_14default_configENS1_29reduce_by_key_config_selectorIiiN6thrust23THRUST_200600_302600_NS4plusIiEEEEZZNS1_33reduce_by_key_impl_wrapped_configILNS1_25lookback_scan_determinismE0ES3_S9_NS6_18transform_iteratorI25linear_index_to_row_indexIiENS6_17counting_iteratorIiNS6_11use_defaultESG_SG_EESG_SG_EENS6_6detail15normal_iteratorINS6_10device_ptrIiEEEESN_SN_PmS8_NS6_8equal_toIiEEEE10hipError_tPvRmT2_T3_mT4_T5_T6_T7_T8_P12ihipStream_tbENKUlT_T0_E_clISt17integral_constantIbLb1EES18_EEDaS13_S14_EUlS13_E_NS1_11comp_targetILNS1_3genE4ELNS1_11target_archE910ELNS1_3gpuE8ELNS1_3repE0EEENS1_30default_config_static_selectorELNS0_4arch9wavefront6targetE0EEEvT1_
	.p2align	8
	.type	_ZN7rocprim17ROCPRIM_400000_NS6detail17trampoline_kernelINS0_14default_configENS1_29reduce_by_key_config_selectorIiiN6thrust23THRUST_200600_302600_NS4plusIiEEEEZZNS1_33reduce_by_key_impl_wrapped_configILNS1_25lookback_scan_determinismE0ES3_S9_NS6_18transform_iteratorI25linear_index_to_row_indexIiENS6_17counting_iteratorIiNS6_11use_defaultESG_SG_EESG_SG_EENS6_6detail15normal_iteratorINS6_10device_ptrIiEEEESN_SN_PmS8_NS6_8equal_toIiEEEE10hipError_tPvRmT2_T3_mT4_T5_T6_T7_T8_P12ihipStream_tbENKUlT_T0_E_clISt17integral_constantIbLb1EES18_EEDaS13_S14_EUlS13_E_NS1_11comp_targetILNS1_3genE4ELNS1_11target_archE910ELNS1_3gpuE8ELNS1_3repE0EEENS1_30default_config_static_selectorELNS0_4arch9wavefront6targetE0EEEvT1_,@function
_ZN7rocprim17ROCPRIM_400000_NS6detail17trampoline_kernelINS0_14default_configENS1_29reduce_by_key_config_selectorIiiN6thrust23THRUST_200600_302600_NS4plusIiEEEEZZNS1_33reduce_by_key_impl_wrapped_configILNS1_25lookback_scan_determinismE0ES3_S9_NS6_18transform_iteratorI25linear_index_to_row_indexIiENS6_17counting_iteratorIiNS6_11use_defaultESG_SG_EESG_SG_EENS6_6detail15normal_iteratorINS6_10device_ptrIiEEEESN_SN_PmS8_NS6_8equal_toIiEEEE10hipError_tPvRmT2_T3_mT4_T5_T6_T7_T8_P12ihipStream_tbENKUlT_T0_E_clISt17integral_constantIbLb1EES18_EEDaS13_S14_EUlS13_E_NS1_11comp_targetILNS1_3genE4ELNS1_11target_archE910ELNS1_3gpuE8ELNS1_3repE0EEENS1_30default_config_static_selectorELNS0_4arch9wavefront6targetE0EEEvT1_: ; @_ZN7rocprim17ROCPRIM_400000_NS6detail17trampoline_kernelINS0_14default_configENS1_29reduce_by_key_config_selectorIiiN6thrust23THRUST_200600_302600_NS4plusIiEEEEZZNS1_33reduce_by_key_impl_wrapped_configILNS1_25lookback_scan_determinismE0ES3_S9_NS6_18transform_iteratorI25linear_index_to_row_indexIiENS6_17counting_iteratorIiNS6_11use_defaultESG_SG_EESG_SG_EENS6_6detail15normal_iteratorINS6_10device_ptrIiEEEESN_SN_PmS8_NS6_8equal_toIiEEEE10hipError_tPvRmT2_T3_mT4_T5_T6_T7_T8_P12ihipStream_tbENKUlT_T0_E_clISt17integral_constantIbLb1EES18_EEDaS13_S14_EUlS13_E_NS1_11comp_targetILNS1_3genE4ELNS1_11target_archE910ELNS1_3gpuE8ELNS1_3repE0EEENS1_30default_config_static_selectorELNS0_4arch9wavefront6targetE0EEEvT1_
; %bb.0:
	.section	.rodata,"a",@progbits
	.p2align	6, 0x0
	.amdhsa_kernel _ZN7rocprim17ROCPRIM_400000_NS6detail17trampoline_kernelINS0_14default_configENS1_29reduce_by_key_config_selectorIiiN6thrust23THRUST_200600_302600_NS4plusIiEEEEZZNS1_33reduce_by_key_impl_wrapped_configILNS1_25lookback_scan_determinismE0ES3_S9_NS6_18transform_iteratorI25linear_index_to_row_indexIiENS6_17counting_iteratorIiNS6_11use_defaultESG_SG_EESG_SG_EENS6_6detail15normal_iteratorINS6_10device_ptrIiEEEESN_SN_PmS8_NS6_8equal_toIiEEEE10hipError_tPvRmT2_T3_mT4_T5_T6_T7_T8_P12ihipStream_tbENKUlT_T0_E_clISt17integral_constantIbLb1EES18_EEDaS13_S14_EUlS13_E_NS1_11comp_targetILNS1_3genE4ELNS1_11target_archE910ELNS1_3gpuE8ELNS1_3repE0EEENS1_30default_config_static_selectorELNS0_4arch9wavefront6targetE0EEEvT1_
		.amdhsa_group_segment_fixed_size 0
		.amdhsa_private_segment_fixed_size 0
		.amdhsa_kernarg_size 120
		.amdhsa_user_sgpr_count 6
		.amdhsa_user_sgpr_private_segment_buffer 1
		.amdhsa_user_sgpr_dispatch_ptr 0
		.amdhsa_user_sgpr_queue_ptr 0
		.amdhsa_user_sgpr_kernarg_segment_ptr 1
		.amdhsa_user_sgpr_dispatch_id 0
		.amdhsa_user_sgpr_flat_scratch_init 0
		.amdhsa_user_sgpr_private_segment_size 0
		.amdhsa_wavefront_size32 1
		.amdhsa_uses_dynamic_stack 0
		.amdhsa_system_sgpr_private_segment_wavefront_offset 0
		.amdhsa_system_sgpr_workgroup_id_x 1
		.amdhsa_system_sgpr_workgroup_id_y 0
		.amdhsa_system_sgpr_workgroup_id_z 0
		.amdhsa_system_sgpr_workgroup_info 0
		.amdhsa_system_vgpr_workitem_id 0
		.amdhsa_next_free_vgpr 1
		.amdhsa_next_free_sgpr 1
		.amdhsa_reserve_vcc 0
		.amdhsa_reserve_flat_scratch 0
		.amdhsa_float_round_mode_32 0
		.amdhsa_float_round_mode_16_64 0
		.amdhsa_float_denorm_mode_32 3
		.amdhsa_float_denorm_mode_16_64 3
		.amdhsa_dx10_clamp 1
		.amdhsa_ieee_mode 1
		.amdhsa_fp16_overflow 0
		.amdhsa_workgroup_processor_mode 1
		.amdhsa_memory_ordered 1
		.amdhsa_forward_progress 1
		.amdhsa_shared_vgpr_count 0
		.amdhsa_exception_fp_ieee_invalid_op 0
		.amdhsa_exception_fp_denorm_src 0
		.amdhsa_exception_fp_ieee_div_zero 0
		.amdhsa_exception_fp_ieee_overflow 0
		.amdhsa_exception_fp_ieee_underflow 0
		.amdhsa_exception_fp_ieee_inexact 0
		.amdhsa_exception_int_div_zero 0
	.end_amdhsa_kernel
	.section	.text._ZN7rocprim17ROCPRIM_400000_NS6detail17trampoline_kernelINS0_14default_configENS1_29reduce_by_key_config_selectorIiiN6thrust23THRUST_200600_302600_NS4plusIiEEEEZZNS1_33reduce_by_key_impl_wrapped_configILNS1_25lookback_scan_determinismE0ES3_S9_NS6_18transform_iteratorI25linear_index_to_row_indexIiENS6_17counting_iteratorIiNS6_11use_defaultESG_SG_EESG_SG_EENS6_6detail15normal_iteratorINS6_10device_ptrIiEEEESN_SN_PmS8_NS6_8equal_toIiEEEE10hipError_tPvRmT2_T3_mT4_T5_T6_T7_T8_P12ihipStream_tbENKUlT_T0_E_clISt17integral_constantIbLb1EES18_EEDaS13_S14_EUlS13_E_NS1_11comp_targetILNS1_3genE4ELNS1_11target_archE910ELNS1_3gpuE8ELNS1_3repE0EEENS1_30default_config_static_selectorELNS0_4arch9wavefront6targetE0EEEvT1_,"axG",@progbits,_ZN7rocprim17ROCPRIM_400000_NS6detail17trampoline_kernelINS0_14default_configENS1_29reduce_by_key_config_selectorIiiN6thrust23THRUST_200600_302600_NS4plusIiEEEEZZNS1_33reduce_by_key_impl_wrapped_configILNS1_25lookback_scan_determinismE0ES3_S9_NS6_18transform_iteratorI25linear_index_to_row_indexIiENS6_17counting_iteratorIiNS6_11use_defaultESG_SG_EESG_SG_EENS6_6detail15normal_iteratorINS6_10device_ptrIiEEEESN_SN_PmS8_NS6_8equal_toIiEEEE10hipError_tPvRmT2_T3_mT4_T5_T6_T7_T8_P12ihipStream_tbENKUlT_T0_E_clISt17integral_constantIbLb1EES18_EEDaS13_S14_EUlS13_E_NS1_11comp_targetILNS1_3genE4ELNS1_11target_archE910ELNS1_3gpuE8ELNS1_3repE0EEENS1_30default_config_static_selectorELNS0_4arch9wavefront6targetE0EEEvT1_,comdat
.Lfunc_end23:
	.size	_ZN7rocprim17ROCPRIM_400000_NS6detail17trampoline_kernelINS0_14default_configENS1_29reduce_by_key_config_selectorIiiN6thrust23THRUST_200600_302600_NS4plusIiEEEEZZNS1_33reduce_by_key_impl_wrapped_configILNS1_25lookback_scan_determinismE0ES3_S9_NS6_18transform_iteratorI25linear_index_to_row_indexIiENS6_17counting_iteratorIiNS6_11use_defaultESG_SG_EESG_SG_EENS6_6detail15normal_iteratorINS6_10device_ptrIiEEEESN_SN_PmS8_NS6_8equal_toIiEEEE10hipError_tPvRmT2_T3_mT4_T5_T6_T7_T8_P12ihipStream_tbENKUlT_T0_E_clISt17integral_constantIbLb1EES18_EEDaS13_S14_EUlS13_E_NS1_11comp_targetILNS1_3genE4ELNS1_11target_archE910ELNS1_3gpuE8ELNS1_3repE0EEENS1_30default_config_static_selectorELNS0_4arch9wavefront6targetE0EEEvT1_, .Lfunc_end23-_ZN7rocprim17ROCPRIM_400000_NS6detail17trampoline_kernelINS0_14default_configENS1_29reduce_by_key_config_selectorIiiN6thrust23THRUST_200600_302600_NS4plusIiEEEEZZNS1_33reduce_by_key_impl_wrapped_configILNS1_25lookback_scan_determinismE0ES3_S9_NS6_18transform_iteratorI25linear_index_to_row_indexIiENS6_17counting_iteratorIiNS6_11use_defaultESG_SG_EESG_SG_EENS6_6detail15normal_iteratorINS6_10device_ptrIiEEEESN_SN_PmS8_NS6_8equal_toIiEEEE10hipError_tPvRmT2_T3_mT4_T5_T6_T7_T8_P12ihipStream_tbENKUlT_T0_E_clISt17integral_constantIbLb1EES18_EEDaS13_S14_EUlS13_E_NS1_11comp_targetILNS1_3genE4ELNS1_11target_archE910ELNS1_3gpuE8ELNS1_3repE0EEENS1_30default_config_static_selectorELNS0_4arch9wavefront6targetE0EEEvT1_
                                        ; -- End function
	.set _ZN7rocprim17ROCPRIM_400000_NS6detail17trampoline_kernelINS0_14default_configENS1_29reduce_by_key_config_selectorIiiN6thrust23THRUST_200600_302600_NS4plusIiEEEEZZNS1_33reduce_by_key_impl_wrapped_configILNS1_25lookback_scan_determinismE0ES3_S9_NS6_18transform_iteratorI25linear_index_to_row_indexIiENS6_17counting_iteratorIiNS6_11use_defaultESG_SG_EESG_SG_EENS6_6detail15normal_iteratorINS6_10device_ptrIiEEEESN_SN_PmS8_NS6_8equal_toIiEEEE10hipError_tPvRmT2_T3_mT4_T5_T6_T7_T8_P12ihipStream_tbENKUlT_T0_E_clISt17integral_constantIbLb1EES18_EEDaS13_S14_EUlS13_E_NS1_11comp_targetILNS1_3genE4ELNS1_11target_archE910ELNS1_3gpuE8ELNS1_3repE0EEENS1_30default_config_static_selectorELNS0_4arch9wavefront6targetE0EEEvT1_.num_vgpr, 0
	.set _ZN7rocprim17ROCPRIM_400000_NS6detail17trampoline_kernelINS0_14default_configENS1_29reduce_by_key_config_selectorIiiN6thrust23THRUST_200600_302600_NS4plusIiEEEEZZNS1_33reduce_by_key_impl_wrapped_configILNS1_25lookback_scan_determinismE0ES3_S9_NS6_18transform_iteratorI25linear_index_to_row_indexIiENS6_17counting_iteratorIiNS6_11use_defaultESG_SG_EESG_SG_EENS6_6detail15normal_iteratorINS6_10device_ptrIiEEEESN_SN_PmS8_NS6_8equal_toIiEEEE10hipError_tPvRmT2_T3_mT4_T5_T6_T7_T8_P12ihipStream_tbENKUlT_T0_E_clISt17integral_constantIbLb1EES18_EEDaS13_S14_EUlS13_E_NS1_11comp_targetILNS1_3genE4ELNS1_11target_archE910ELNS1_3gpuE8ELNS1_3repE0EEENS1_30default_config_static_selectorELNS0_4arch9wavefront6targetE0EEEvT1_.num_agpr, 0
	.set _ZN7rocprim17ROCPRIM_400000_NS6detail17trampoline_kernelINS0_14default_configENS1_29reduce_by_key_config_selectorIiiN6thrust23THRUST_200600_302600_NS4plusIiEEEEZZNS1_33reduce_by_key_impl_wrapped_configILNS1_25lookback_scan_determinismE0ES3_S9_NS6_18transform_iteratorI25linear_index_to_row_indexIiENS6_17counting_iteratorIiNS6_11use_defaultESG_SG_EESG_SG_EENS6_6detail15normal_iteratorINS6_10device_ptrIiEEEESN_SN_PmS8_NS6_8equal_toIiEEEE10hipError_tPvRmT2_T3_mT4_T5_T6_T7_T8_P12ihipStream_tbENKUlT_T0_E_clISt17integral_constantIbLb1EES18_EEDaS13_S14_EUlS13_E_NS1_11comp_targetILNS1_3genE4ELNS1_11target_archE910ELNS1_3gpuE8ELNS1_3repE0EEENS1_30default_config_static_selectorELNS0_4arch9wavefront6targetE0EEEvT1_.numbered_sgpr, 0
	.set _ZN7rocprim17ROCPRIM_400000_NS6detail17trampoline_kernelINS0_14default_configENS1_29reduce_by_key_config_selectorIiiN6thrust23THRUST_200600_302600_NS4plusIiEEEEZZNS1_33reduce_by_key_impl_wrapped_configILNS1_25lookback_scan_determinismE0ES3_S9_NS6_18transform_iteratorI25linear_index_to_row_indexIiENS6_17counting_iteratorIiNS6_11use_defaultESG_SG_EESG_SG_EENS6_6detail15normal_iteratorINS6_10device_ptrIiEEEESN_SN_PmS8_NS6_8equal_toIiEEEE10hipError_tPvRmT2_T3_mT4_T5_T6_T7_T8_P12ihipStream_tbENKUlT_T0_E_clISt17integral_constantIbLb1EES18_EEDaS13_S14_EUlS13_E_NS1_11comp_targetILNS1_3genE4ELNS1_11target_archE910ELNS1_3gpuE8ELNS1_3repE0EEENS1_30default_config_static_selectorELNS0_4arch9wavefront6targetE0EEEvT1_.num_named_barrier, 0
	.set _ZN7rocprim17ROCPRIM_400000_NS6detail17trampoline_kernelINS0_14default_configENS1_29reduce_by_key_config_selectorIiiN6thrust23THRUST_200600_302600_NS4plusIiEEEEZZNS1_33reduce_by_key_impl_wrapped_configILNS1_25lookback_scan_determinismE0ES3_S9_NS6_18transform_iteratorI25linear_index_to_row_indexIiENS6_17counting_iteratorIiNS6_11use_defaultESG_SG_EESG_SG_EENS6_6detail15normal_iteratorINS6_10device_ptrIiEEEESN_SN_PmS8_NS6_8equal_toIiEEEE10hipError_tPvRmT2_T3_mT4_T5_T6_T7_T8_P12ihipStream_tbENKUlT_T0_E_clISt17integral_constantIbLb1EES18_EEDaS13_S14_EUlS13_E_NS1_11comp_targetILNS1_3genE4ELNS1_11target_archE910ELNS1_3gpuE8ELNS1_3repE0EEENS1_30default_config_static_selectorELNS0_4arch9wavefront6targetE0EEEvT1_.private_seg_size, 0
	.set _ZN7rocprim17ROCPRIM_400000_NS6detail17trampoline_kernelINS0_14default_configENS1_29reduce_by_key_config_selectorIiiN6thrust23THRUST_200600_302600_NS4plusIiEEEEZZNS1_33reduce_by_key_impl_wrapped_configILNS1_25lookback_scan_determinismE0ES3_S9_NS6_18transform_iteratorI25linear_index_to_row_indexIiENS6_17counting_iteratorIiNS6_11use_defaultESG_SG_EESG_SG_EENS6_6detail15normal_iteratorINS6_10device_ptrIiEEEESN_SN_PmS8_NS6_8equal_toIiEEEE10hipError_tPvRmT2_T3_mT4_T5_T6_T7_T8_P12ihipStream_tbENKUlT_T0_E_clISt17integral_constantIbLb1EES18_EEDaS13_S14_EUlS13_E_NS1_11comp_targetILNS1_3genE4ELNS1_11target_archE910ELNS1_3gpuE8ELNS1_3repE0EEENS1_30default_config_static_selectorELNS0_4arch9wavefront6targetE0EEEvT1_.uses_vcc, 0
	.set _ZN7rocprim17ROCPRIM_400000_NS6detail17trampoline_kernelINS0_14default_configENS1_29reduce_by_key_config_selectorIiiN6thrust23THRUST_200600_302600_NS4plusIiEEEEZZNS1_33reduce_by_key_impl_wrapped_configILNS1_25lookback_scan_determinismE0ES3_S9_NS6_18transform_iteratorI25linear_index_to_row_indexIiENS6_17counting_iteratorIiNS6_11use_defaultESG_SG_EESG_SG_EENS6_6detail15normal_iteratorINS6_10device_ptrIiEEEESN_SN_PmS8_NS6_8equal_toIiEEEE10hipError_tPvRmT2_T3_mT4_T5_T6_T7_T8_P12ihipStream_tbENKUlT_T0_E_clISt17integral_constantIbLb1EES18_EEDaS13_S14_EUlS13_E_NS1_11comp_targetILNS1_3genE4ELNS1_11target_archE910ELNS1_3gpuE8ELNS1_3repE0EEENS1_30default_config_static_selectorELNS0_4arch9wavefront6targetE0EEEvT1_.uses_flat_scratch, 0
	.set _ZN7rocprim17ROCPRIM_400000_NS6detail17trampoline_kernelINS0_14default_configENS1_29reduce_by_key_config_selectorIiiN6thrust23THRUST_200600_302600_NS4plusIiEEEEZZNS1_33reduce_by_key_impl_wrapped_configILNS1_25lookback_scan_determinismE0ES3_S9_NS6_18transform_iteratorI25linear_index_to_row_indexIiENS6_17counting_iteratorIiNS6_11use_defaultESG_SG_EESG_SG_EENS6_6detail15normal_iteratorINS6_10device_ptrIiEEEESN_SN_PmS8_NS6_8equal_toIiEEEE10hipError_tPvRmT2_T3_mT4_T5_T6_T7_T8_P12ihipStream_tbENKUlT_T0_E_clISt17integral_constantIbLb1EES18_EEDaS13_S14_EUlS13_E_NS1_11comp_targetILNS1_3genE4ELNS1_11target_archE910ELNS1_3gpuE8ELNS1_3repE0EEENS1_30default_config_static_selectorELNS0_4arch9wavefront6targetE0EEEvT1_.has_dyn_sized_stack, 0
	.set _ZN7rocprim17ROCPRIM_400000_NS6detail17trampoline_kernelINS0_14default_configENS1_29reduce_by_key_config_selectorIiiN6thrust23THRUST_200600_302600_NS4plusIiEEEEZZNS1_33reduce_by_key_impl_wrapped_configILNS1_25lookback_scan_determinismE0ES3_S9_NS6_18transform_iteratorI25linear_index_to_row_indexIiENS6_17counting_iteratorIiNS6_11use_defaultESG_SG_EESG_SG_EENS6_6detail15normal_iteratorINS6_10device_ptrIiEEEESN_SN_PmS8_NS6_8equal_toIiEEEE10hipError_tPvRmT2_T3_mT4_T5_T6_T7_T8_P12ihipStream_tbENKUlT_T0_E_clISt17integral_constantIbLb1EES18_EEDaS13_S14_EUlS13_E_NS1_11comp_targetILNS1_3genE4ELNS1_11target_archE910ELNS1_3gpuE8ELNS1_3repE0EEENS1_30default_config_static_selectorELNS0_4arch9wavefront6targetE0EEEvT1_.has_recursion, 0
	.set _ZN7rocprim17ROCPRIM_400000_NS6detail17trampoline_kernelINS0_14default_configENS1_29reduce_by_key_config_selectorIiiN6thrust23THRUST_200600_302600_NS4plusIiEEEEZZNS1_33reduce_by_key_impl_wrapped_configILNS1_25lookback_scan_determinismE0ES3_S9_NS6_18transform_iteratorI25linear_index_to_row_indexIiENS6_17counting_iteratorIiNS6_11use_defaultESG_SG_EESG_SG_EENS6_6detail15normal_iteratorINS6_10device_ptrIiEEEESN_SN_PmS8_NS6_8equal_toIiEEEE10hipError_tPvRmT2_T3_mT4_T5_T6_T7_T8_P12ihipStream_tbENKUlT_T0_E_clISt17integral_constantIbLb1EES18_EEDaS13_S14_EUlS13_E_NS1_11comp_targetILNS1_3genE4ELNS1_11target_archE910ELNS1_3gpuE8ELNS1_3repE0EEENS1_30default_config_static_selectorELNS0_4arch9wavefront6targetE0EEEvT1_.has_indirect_call, 0
	.section	.AMDGPU.csdata,"",@progbits
; Kernel info:
; codeLenInByte = 0
; TotalNumSgprs: 0
; NumVgprs: 0
; ScratchSize: 0
; MemoryBound: 0
; FloatMode: 240
; IeeeMode: 1
; LDSByteSize: 0 bytes/workgroup (compile time only)
; SGPRBlocks: 0
; VGPRBlocks: 0
; NumSGPRsForWavesPerEU: 1
; NumVGPRsForWavesPerEU: 1
; Occupancy: 16
; WaveLimiterHint : 0
; COMPUTE_PGM_RSRC2:SCRATCH_EN: 0
; COMPUTE_PGM_RSRC2:USER_SGPR: 6
; COMPUTE_PGM_RSRC2:TRAP_HANDLER: 0
; COMPUTE_PGM_RSRC2:TGID_X_EN: 1
; COMPUTE_PGM_RSRC2:TGID_Y_EN: 0
; COMPUTE_PGM_RSRC2:TGID_Z_EN: 0
; COMPUTE_PGM_RSRC2:TIDIG_COMP_CNT: 0
	.section	.text._ZN7rocprim17ROCPRIM_400000_NS6detail17trampoline_kernelINS0_14default_configENS1_29reduce_by_key_config_selectorIiiN6thrust23THRUST_200600_302600_NS4plusIiEEEEZZNS1_33reduce_by_key_impl_wrapped_configILNS1_25lookback_scan_determinismE0ES3_S9_NS6_18transform_iteratorI25linear_index_to_row_indexIiENS6_17counting_iteratorIiNS6_11use_defaultESG_SG_EESG_SG_EENS6_6detail15normal_iteratorINS6_10device_ptrIiEEEESN_SN_PmS8_NS6_8equal_toIiEEEE10hipError_tPvRmT2_T3_mT4_T5_T6_T7_T8_P12ihipStream_tbENKUlT_T0_E_clISt17integral_constantIbLb1EES18_EEDaS13_S14_EUlS13_E_NS1_11comp_targetILNS1_3genE3ELNS1_11target_archE908ELNS1_3gpuE7ELNS1_3repE0EEENS1_30default_config_static_selectorELNS0_4arch9wavefront6targetE0EEEvT1_,"axG",@progbits,_ZN7rocprim17ROCPRIM_400000_NS6detail17trampoline_kernelINS0_14default_configENS1_29reduce_by_key_config_selectorIiiN6thrust23THRUST_200600_302600_NS4plusIiEEEEZZNS1_33reduce_by_key_impl_wrapped_configILNS1_25lookback_scan_determinismE0ES3_S9_NS6_18transform_iteratorI25linear_index_to_row_indexIiENS6_17counting_iteratorIiNS6_11use_defaultESG_SG_EESG_SG_EENS6_6detail15normal_iteratorINS6_10device_ptrIiEEEESN_SN_PmS8_NS6_8equal_toIiEEEE10hipError_tPvRmT2_T3_mT4_T5_T6_T7_T8_P12ihipStream_tbENKUlT_T0_E_clISt17integral_constantIbLb1EES18_EEDaS13_S14_EUlS13_E_NS1_11comp_targetILNS1_3genE3ELNS1_11target_archE908ELNS1_3gpuE7ELNS1_3repE0EEENS1_30default_config_static_selectorELNS0_4arch9wavefront6targetE0EEEvT1_,comdat
	.protected	_ZN7rocprim17ROCPRIM_400000_NS6detail17trampoline_kernelINS0_14default_configENS1_29reduce_by_key_config_selectorIiiN6thrust23THRUST_200600_302600_NS4plusIiEEEEZZNS1_33reduce_by_key_impl_wrapped_configILNS1_25lookback_scan_determinismE0ES3_S9_NS6_18transform_iteratorI25linear_index_to_row_indexIiENS6_17counting_iteratorIiNS6_11use_defaultESG_SG_EESG_SG_EENS6_6detail15normal_iteratorINS6_10device_ptrIiEEEESN_SN_PmS8_NS6_8equal_toIiEEEE10hipError_tPvRmT2_T3_mT4_T5_T6_T7_T8_P12ihipStream_tbENKUlT_T0_E_clISt17integral_constantIbLb1EES18_EEDaS13_S14_EUlS13_E_NS1_11comp_targetILNS1_3genE3ELNS1_11target_archE908ELNS1_3gpuE7ELNS1_3repE0EEENS1_30default_config_static_selectorELNS0_4arch9wavefront6targetE0EEEvT1_ ; -- Begin function _ZN7rocprim17ROCPRIM_400000_NS6detail17trampoline_kernelINS0_14default_configENS1_29reduce_by_key_config_selectorIiiN6thrust23THRUST_200600_302600_NS4plusIiEEEEZZNS1_33reduce_by_key_impl_wrapped_configILNS1_25lookback_scan_determinismE0ES3_S9_NS6_18transform_iteratorI25linear_index_to_row_indexIiENS6_17counting_iteratorIiNS6_11use_defaultESG_SG_EESG_SG_EENS6_6detail15normal_iteratorINS6_10device_ptrIiEEEESN_SN_PmS8_NS6_8equal_toIiEEEE10hipError_tPvRmT2_T3_mT4_T5_T6_T7_T8_P12ihipStream_tbENKUlT_T0_E_clISt17integral_constantIbLb1EES18_EEDaS13_S14_EUlS13_E_NS1_11comp_targetILNS1_3genE3ELNS1_11target_archE908ELNS1_3gpuE7ELNS1_3repE0EEENS1_30default_config_static_selectorELNS0_4arch9wavefront6targetE0EEEvT1_
	.globl	_ZN7rocprim17ROCPRIM_400000_NS6detail17trampoline_kernelINS0_14default_configENS1_29reduce_by_key_config_selectorIiiN6thrust23THRUST_200600_302600_NS4plusIiEEEEZZNS1_33reduce_by_key_impl_wrapped_configILNS1_25lookback_scan_determinismE0ES3_S9_NS6_18transform_iteratorI25linear_index_to_row_indexIiENS6_17counting_iteratorIiNS6_11use_defaultESG_SG_EESG_SG_EENS6_6detail15normal_iteratorINS6_10device_ptrIiEEEESN_SN_PmS8_NS6_8equal_toIiEEEE10hipError_tPvRmT2_T3_mT4_T5_T6_T7_T8_P12ihipStream_tbENKUlT_T0_E_clISt17integral_constantIbLb1EES18_EEDaS13_S14_EUlS13_E_NS1_11comp_targetILNS1_3genE3ELNS1_11target_archE908ELNS1_3gpuE7ELNS1_3repE0EEENS1_30default_config_static_selectorELNS0_4arch9wavefront6targetE0EEEvT1_
	.p2align	8
	.type	_ZN7rocprim17ROCPRIM_400000_NS6detail17trampoline_kernelINS0_14default_configENS1_29reduce_by_key_config_selectorIiiN6thrust23THRUST_200600_302600_NS4plusIiEEEEZZNS1_33reduce_by_key_impl_wrapped_configILNS1_25lookback_scan_determinismE0ES3_S9_NS6_18transform_iteratorI25linear_index_to_row_indexIiENS6_17counting_iteratorIiNS6_11use_defaultESG_SG_EESG_SG_EENS6_6detail15normal_iteratorINS6_10device_ptrIiEEEESN_SN_PmS8_NS6_8equal_toIiEEEE10hipError_tPvRmT2_T3_mT4_T5_T6_T7_T8_P12ihipStream_tbENKUlT_T0_E_clISt17integral_constantIbLb1EES18_EEDaS13_S14_EUlS13_E_NS1_11comp_targetILNS1_3genE3ELNS1_11target_archE908ELNS1_3gpuE7ELNS1_3repE0EEENS1_30default_config_static_selectorELNS0_4arch9wavefront6targetE0EEEvT1_,@function
_ZN7rocprim17ROCPRIM_400000_NS6detail17trampoline_kernelINS0_14default_configENS1_29reduce_by_key_config_selectorIiiN6thrust23THRUST_200600_302600_NS4plusIiEEEEZZNS1_33reduce_by_key_impl_wrapped_configILNS1_25lookback_scan_determinismE0ES3_S9_NS6_18transform_iteratorI25linear_index_to_row_indexIiENS6_17counting_iteratorIiNS6_11use_defaultESG_SG_EESG_SG_EENS6_6detail15normal_iteratorINS6_10device_ptrIiEEEESN_SN_PmS8_NS6_8equal_toIiEEEE10hipError_tPvRmT2_T3_mT4_T5_T6_T7_T8_P12ihipStream_tbENKUlT_T0_E_clISt17integral_constantIbLb1EES18_EEDaS13_S14_EUlS13_E_NS1_11comp_targetILNS1_3genE3ELNS1_11target_archE908ELNS1_3gpuE7ELNS1_3repE0EEENS1_30default_config_static_selectorELNS0_4arch9wavefront6targetE0EEEvT1_: ; @_ZN7rocprim17ROCPRIM_400000_NS6detail17trampoline_kernelINS0_14default_configENS1_29reduce_by_key_config_selectorIiiN6thrust23THRUST_200600_302600_NS4plusIiEEEEZZNS1_33reduce_by_key_impl_wrapped_configILNS1_25lookback_scan_determinismE0ES3_S9_NS6_18transform_iteratorI25linear_index_to_row_indexIiENS6_17counting_iteratorIiNS6_11use_defaultESG_SG_EESG_SG_EENS6_6detail15normal_iteratorINS6_10device_ptrIiEEEESN_SN_PmS8_NS6_8equal_toIiEEEE10hipError_tPvRmT2_T3_mT4_T5_T6_T7_T8_P12ihipStream_tbENKUlT_T0_E_clISt17integral_constantIbLb1EES18_EEDaS13_S14_EUlS13_E_NS1_11comp_targetILNS1_3genE3ELNS1_11target_archE908ELNS1_3gpuE7ELNS1_3repE0EEENS1_30default_config_static_selectorELNS0_4arch9wavefront6targetE0EEEvT1_
; %bb.0:
	.section	.rodata,"a",@progbits
	.p2align	6, 0x0
	.amdhsa_kernel _ZN7rocprim17ROCPRIM_400000_NS6detail17trampoline_kernelINS0_14default_configENS1_29reduce_by_key_config_selectorIiiN6thrust23THRUST_200600_302600_NS4plusIiEEEEZZNS1_33reduce_by_key_impl_wrapped_configILNS1_25lookback_scan_determinismE0ES3_S9_NS6_18transform_iteratorI25linear_index_to_row_indexIiENS6_17counting_iteratorIiNS6_11use_defaultESG_SG_EESG_SG_EENS6_6detail15normal_iteratorINS6_10device_ptrIiEEEESN_SN_PmS8_NS6_8equal_toIiEEEE10hipError_tPvRmT2_T3_mT4_T5_T6_T7_T8_P12ihipStream_tbENKUlT_T0_E_clISt17integral_constantIbLb1EES18_EEDaS13_S14_EUlS13_E_NS1_11comp_targetILNS1_3genE3ELNS1_11target_archE908ELNS1_3gpuE7ELNS1_3repE0EEENS1_30default_config_static_selectorELNS0_4arch9wavefront6targetE0EEEvT1_
		.amdhsa_group_segment_fixed_size 0
		.amdhsa_private_segment_fixed_size 0
		.amdhsa_kernarg_size 120
		.amdhsa_user_sgpr_count 6
		.amdhsa_user_sgpr_private_segment_buffer 1
		.amdhsa_user_sgpr_dispatch_ptr 0
		.amdhsa_user_sgpr_queue_ptr 0
		.amdhsa_user_sgpr_kernarg_segment_ptr 1
		.amdhsa_user_sgpr_dispatch_id 0
		.amdhsa_user_sgpr_flat_scratch_init 0
		.amdhsa_user_sgpr_private_segment_size 0
		.amdhsa_wavefront_size32 1
		.amdhsa_uses_dynamic_stack 0
		.amdhsa_system_sgpr_private_segment_wavefront_offset 0
		.amdhsa_system_sgpr_workgroup_id_x 1
		.amdhsa_system_sgpr_workgroup_id_y 0
		.amdhsa_system_sgpr_workgroup_id_z 0
		.amdhsa_system_sgpr_workgroup_info 0
		.amdhsa_system_vgpr_workitem_id 0
		.amdhsa_next_free_vgpr 1
		.amdhsa_next_free_sgpr 1
		.amdhsa_reserve_vcc 0
		.amdhsa_reserve_flat_scratch 0
		.amdhsa_float_round_mode_32 0
		.amdhsa_float_round_mode_16_64 0
		.amdhsa_float_denorm_mode_32 3
		.amdhsa_float_denorm_mode_16_64 3
		.amdhsa_dx10_clamp 1
		.amdhsa_ieee_mode 1
		.amdhsa_fp16_overflow 0
		.amdhsa_workgroup_processor_mode 1
		.amdhsa_memory_ordered 1
		.amdhsa_forward_progress 1
		.amdhsa_shared_vgpr_count 0
		.amdhsa_exception_fp_ieee_invalid_op 0
		.amdhsa_exception_fp_denorm_src 0
		.amdhsa_exception_fp_ieee_div_zero 0
		.amdhsa_exception_fp_ieee_overflow 0
		.amdhsa_exception_fp_ieee_underflow 0
		.amdhsa_exception_fp_ieee_inexact 0
		.amdhsa_exception_int_div_zero 0
	.end_amdhsa_kernel
	.section	.text._ZN7rocprim17ROCPRIM_400000_NS6detail17trampoline_kernelINS0_14default_configENS1_29reduce_by_key_config_selectorIiiN6thrust23THRUST_200600_302600_NS4plusIiEEEEZZNS1_33reduce_by_key_impl_wrapped_configILNS1_25lookback_scan_determinismE0ES3_S9_NS6_18transform_iteratorI25linear_index_to_row_indexIiENS6_17counting_iteratorIiNS6_11use_defaultESG_SG_EESG_SG_EENS6_6detail15normal_iteratorINS6_10device_ptrIiEEEESN_SN_PmS8_NS6_8equal_toIiEEEE10hipError_tPvRmT2_T3_mT4_T5_T6_T7_T8_P12ihipStream_tbENKUlT_T0_E_clISt17integral_constantIbLb1EES18_EEDaS13_S14_EUlS13_E_NS1_11comp_targetILNS1_3genE3ELNS1_11target_archE908ELNS1_3gpuE7ELNS1_3repE0EEENS1_30default_config_static_selectorELNS0_4arch9wavefront6targetE0EEEvT1_,"axG",@progbits,_ZN7rocprim17ROCPRIM_400000_NS6detail17trampoline_kernelINS0_14default_configENS1_29reduce_by_key_config_selectorIiiN6thrust23THRUST_200600_302600_NS4plusIiEEEEZZNS1_33reduce_by_key_impl_wrapped_configILNS1_25lookback_scan_determinismE0ES3_S9_NS6_18transform_iteratorI25linear_index_to_row_indexIiENS6_17counting_iteratorIiNS6_11use_defaultESG_SG_EESG_SG_EENS6_6detail15normal_iteratorINS6_10device_ptrIiEEEESN_SN_PmS8_NS6_8equal_toIiEEEE10hipError_tPvRmT2_T3_mT4_T5_T6_T7_T8_P12ihipStream_tbENKUlT_T0_E_clISt17integral_constantIbLb1EES18_EEDaS13_S14_EUlS13_E_NS1_11comp_targetILNS1_3genE3ELNS1_11target_archE908ELNS1_3gpuE7ELNS1_3repE0EEENS1_30default_config_static_selectorELNS0_4arch9wavefront6targetE0EEEvT1_,comdat
.Lfunc_end24:
	.size	_ZN7rocprim17ROCPRIM_400000_NS6detail17trampoline_kernelINS0_14default_configENS1_29reduce_by_key_config_selectorIiiN6thrust23THRUST_200600_302600_NS4plusIiEEEEZZNS1_33reduce_by_key_impl_wrapped_configILNS1_25lookback_scan_determinismE0ES3_S9_NS6_18transform_iteratorI25linear_index_to_row_indexIiENS6_17counting_iteratorIiNS6_11use_defaultESG_SG_EESG_SG_EENS6_6detail15normal_iteratorINS6_10device_ptrIiEEEESN_SN_PmS8_NS6_8equal_toIiEEEE10hipError_tPvRmT2_T3_mT4_T5_T6_T7_T8_P12ihipStream_tbENKUlT_T0_E_clISt17integral_constantIbLb1EES18_EEDaS13_S14_EUlS13_E_NS1_11comp_targetILNS1_3genE3ELNS1_11target_archE908ELNS1_3gpuE7ELNS1_3repE0EEENS1_30default_config_static_selectorELNS0_4arch9wavefront6targetE0EEEvT1_, .Lfunc_end24-_ZN7rocprim17ROCPRIM_400000_NS6detail17trampoline_kernelINS0_14default_configENS1_29reduce_by_key_config_selectorIiiN6thrust23THRUST_200600_302600_NS4plusIiEEEEZZNS1_33reduce_by_key_impl_wrapped_configILNS1_25lookback_scan_determinismE0ES3_S9_NS6_18transform_iteratorI25linear_index_to_row_indexIiENS6_17counting_iteratorIiNS6_11use_defaultESG_SG_EESG_SG_EENS6_6detail15normal_iteratorINS6_10device_ptrIiEEEESN_SN_PmS8_NS6_8equal_toIiEEEE10hipError_tPvRmT2_T3_mT4_T5_T6_T7_T8_P12ihipStream_tbENKUlT_T0_E_clISt17integral_constantIbLb1EES18_EEDaS13_S14_EUlS13_E_NS1_11comp_targetILNS1_3genE3ELNS1_11target_archE908ELNS1_3gpuE7ELNS1_3repE0EEENS1_30default_config_static_selectorELNS0_4arch9wavefront6targetE0EEEvT1_
                                        ; -- End function
	.set _ZN7rocprim17ROCPRIM_400000_NS6detail17trampoline_kernelINS0_14default_configENS1_29reduce_by_key_config_selectorIiiN6thrust23THRUST_200600_302600_NS4plusIiEEEEZZNS1_33reduce_by_key_impl_wrapped_configILNS1_25lookback_scan_determinismE0ES3_S9_NS6_18transform_iteratorI25linear_index_to_row_indexIiENS6_17counting_iteratorIiNS6_11use_defaultESG_SG_EESG_SG_EENS6_6detail15normal_iteratorINS6_10device_ptrIiEEEESN_SN_PmS8_NS6_8equal_toIiEEEE10hipError_tPvRmT2_T3_mT4_T5_T6_T7_T8_P12ihipStream_tbENKUlT_T0_E_clISt17integral_constantIbLb1EES18_EEDaS13_S14_EUlS13_E_NS1_11comp_targetILNS1_3genE3ELNS1_11target_archE908ELNS1_3gpuE7ELNS1_3repE0EEENS1_30default_config_static_selectorELNS0_4arch9wavefront6targetE0EEEvT1_.num_vgpr, 0
	.set _ZN7rocprim17ROCPRIM_400000_NS6detail17trampoline_kernelINS0_14default_configENS1_29reduce_by_key_config_selectorIiiN6thrust23THRUST_200600_302600_NS4plusIiEEEEZZNS1_33reduce_by_key_impl_wrapped_configILNS1_25lookback_scan_determinismE0ES3_S9_NS6_18transform_iteratorI25linear_index_to_row_indexIiENS6_17counting_iteratorIiNS6_11use_defaultESG_SG_EESG_SG_EENS6_6detail15normal_iteratorINS6_10device_ptrIiEEEESN_SN_PmS8_NS6_8equal_toIiEEEE10hipError_tPvRmT2_T3_mT4_T5_T6_T7_T8_P12ihipStream_tbENKUlT_T0_E_clISt17integral_constantIbLb1EES18_EEDaS13_S14_EUlS13_E_NS1_11comp_targetILNS1_3genE3ELNS1_11target_archE908ELNS1_3gpuE7ELNS1_3repE0EEENS1_30default_config_static_selectorELNS0_4arch9wavefront6targetE0EEEvT1_.num_agpr, 0
	.set _ZN7rocprim17ROCPRIM_400000_NS6detail17trampoline_kernelINS0_14default_configENS1_29reduce_by_key_config_selectorIiiN6thrust23THRUST_200600_302600_NS4plusIiEEEEZZNS1_33reduce_by_key_impl_wrapped_configILNS1_25lookback_scan_determinismE0ES3_S9_NS6_18transform_iteratorI25linear_index_to_row_indexIiENS6_17counting_iteratorIiNS6_11use_defaultESG_SG_EESG_SG_EENS6_6detail15normal_iteratorINS6_10device_ptrIiEEEESN_SN_PmS8_NS6_8equal_toIiEEEE10hipError_tPvRmT2_T3_mT4_T5_T6_T7_T8_P12ihipStream_tbENKUlT_T0_E_clISt17integral_constantIbLb1EES18_EEDaS13_S14_EUlS13_E_NS1_11comp_targetILNS1_3genE3ELNS1_11target_archE908ELNS1_3gpuE7ELNS1_3repE0EEENS1_30default_config_static_selectorELNS0_4arch9wavefront6targetE0EEEvT1_.numbered_sgpr, 0
	.set _ZN7rocprim17ROCPRIM_400000_NS6detail17trampoline_kernelINS0_14default_configENS1_29reduce_by_key_config_selectorIiiN6thrust23THRUST_200600_302600_NS4plusIiEEEEZZNS1_33reduce_by_key_impl_wrapped_configILNS1_25lookback_scan_determinismE0ES3_S9_NS6_18transform_iteratorI25linear_index_to_row_indexIiENS6_17counting_iteratorIiNS6_11use_defaultESG_SG_EESG_SG_EENS6_6detail15normal_iteratorINS6_10device_ptrIiEEEESN_SN_PmS8_NS6_8equal_toIiEEEE10hipError_tPvRmT2_T3_mT4_T5_T6_T7_T8_P12ihipStream_tbENKUlT_T0_E_clISt17integral_constantIbLb1EES18_EEDaS13_S14_EUlS13_E_NS1_11comp_targetILNS1_3genE3ELNS1_11target_archE908ELNS1_3gpuE7ELNS1_3repE0EEENS1_30default_config_static_selectorELNS0_4arch9wavefront6targetE0EEEvT1_.num_named_barrier, 0
	.set _ZN7rocprim17ROCPRIM_400000_NS6detail17trampoline_kernelINS0_14default_configENS1_29reduce_by_key_config_selectorIiiN6thrust23THRUST_200600_302600_NS4plusIiEEEEZZNS1_33reduce_by_key_impl_wrapped_configILNS1_25lookback_scan_determinismE0ES3_S9_NS6_18transform_iteratorI25linear_index_to_row_indexIiENS6_17counting_iteratorIiNS6_11use_defaultESG_SG_EESG_SG_EENS6_6detail15normal_iteratorINS6_10device_ptrIiEEEESN_SN_PmS8_NS6_8equal_toIiEEEE10hipError_tPvRmT2_T3_mT4_T5_T6_T7_T8_P12ihipStream_tbENKUlT_T0_E_clISt17integral_constantIbLb1EES18_EEDaS13_S14_EUlS13_E_NS1_11comp_targetILNS1_3genE3ELNS1_11target_archE908ELNS1_3gpuE7ELNS1_3repE0EEENS1_30default_config_static_selectorELNS0_4arch9wavefront6targetE0EEEvT1_.private_seg_size, 0
	.set _ZN7rocprim17ROCPRIM_400000_NS6detail17trampoline_kernelINS0_14default_configENS1_29reduce_by_key_config_selectorIiiN6thrust23THRUST_200600_302600_NS4plusIiEEEEZZNS1_33reduce_by_key_impl_wrapped_configILNS1_25lookback_scan_determinismE0ES3_S9_NS6_18transform_iteratorI25linear_index_to_row_indexIiENS6_17counting_iteratorIiNS6_11use_defaultESG_SG_EESG_SG_EENS6_6detail15normal_iteratorINS6_10device_ptrIiEEEESN_SN_PmS8_NS6_8equal_toIiEEEE10hipError_tPvRmT2_T3_mT4_T5_T6_T7_T8_P12ihipStream_tbENKUlT_T0_E_clISt17integral_constantIbLb1EES18_EEDaS13_S14_EUlS13_E_NS1_11comp_targetILNS1_3genE3ELNS1_11target_archE908ELNS1_3gpuE7ELNS1_3repE0EEENS1_30default_config_static_selectorELNS0_4arch9wavefront6targetE0EEEvT1_.uses_vcc, 0
	.set _ZN7rocprim17ROCPRIM_400000_NS6detail17trampoline_kernelINS0_14default_configENS1_29reduce_by_key_config_selectorIiiN6thrust23THRUST_200600_302600_NS4plusIiEEEEZZNS1_33reduce_by_key_impl_wrapped_configILNS1_25lookback_scan_determinismE0ES3_S9_NS6_18transform_iteratorI25linear_index_to_row_indexIiENS6_17counting_iteratorIiNS6_11use_defaultESG_SG_EESG_SG_EENS6_6detail15normal_iteratorINS6_10device_ptrIiEEEESN_SN_PmS8_NS6_8equal_toIiEEEE10hipError_tPvRmT2_T3_mT4_T5_T6_T7_T8_P12ihipStream_tbENKUlT_T0_E_clISt17integral_constantIbLb1EES18_EEDaS13_S14_EUlS13_E_NS1_11comp_targetILNS1_3genE3ELNS1_11target_archE908ELNS1_3gpuE7ELNS1_3repE0EEENS1_30default_config_static_selectorELNS0_4arch9wavefront6targetE0EEEvT1_.uses_flat_scratch, 0
	.set _ZN7rocprim17ROCPRIM_400000_NS6detail17trampoline_kernelINS0_14default_configENS1_29reduce_by_key_config_selectorIiiN6thrust23THRUST_200600_302600_NS4plusIiEEEEZZNS1_33reduce_by_key_impl_wrapped_configILNS1_25lookback_scan_determinismE0ES3_S9_NS6_18transform_iteratorI25linear_index_to_row_indexIiENS6_17counting_iteratorIiNS6_11use_defaultESG_SG_EESG_SG_EENS6_6detail15normal_iteratorINS6_10device_ptrIiEEEESN_SN_PmS8_NS6_8equal_toIiEEEE10hipError_tPvRmT2_T3_mT4_T5_T6_T7_T8_P12ihipStream_tbENKUlT_T0_E_clISt17integral_constantIbLb1EES18_EEDaS13_S14_EUlS13_E_NS1_11comp_targetILNS1_3genE3ELNS1_11target_archE908ELNS1_3gpuE7ELNS1_3repE0EEENS1_30default_config_static_selectorELNS0_4arch9wavefront6targetE0EEEvT1_.has_dyn_sized_stack, 0
	.set _ZN7rocprim17ROCPRIM_400000_NS6detail17trampoline_kernelINS0_14default_configENS1_29reduce_by_key_config_selectorIiiN6thrust23THRUST_200600_302600_NS4plusIiEEEEZZNS1_33reduce_by_key_impl_wrapped_configILNS1_25lookback_scan_determinismE0ES3_S9_NS6_18transform_iteratorI25linear_index_to_row_indexIiENS6_17counting_iteratorIiNS6_11use_defaultESG_SG_EESG_SG_EENS6_6detail15normal_iteratorINS6_10device_ptrIiEEEESN_SN_PmS8_NS6_8equal_toIiEEEE10hipError_tPvRmT2_T3_mT4_T5_T6_T7_T8_P12ihipStream_tbENKUlT_T0_E_clISt17integral_constantIbLb1EES18_EEDaS13_S14_EUlS13_E_NS1_11comp_targetILNS1_3genE3ELNS1_11target_archE908ELNS1_3gpuE7ELNS1_3repE0EEENS1_30default_config_static_selectorELNS0_4arch9wavefront6targetE0EEEvT1_.has_recursion, 0
	.set _ZN7rocprim17ROCPRIM_400000_NS6detail17trampoline_kernelINS0_14default_configENS1_29reduce_by_key_config_selectorIiiN6thrust23THRUST_200600_302600_NS4plusIiEEEEZZNS1_33reduce_by_key_impl_wrapped_configILNS1_25lookback_scan_determinismE0ES3_S9_NS6_18transform_iteratorI25linear_index_to_row_indexIiENS6_17counting_iteratorIiNS6_11use_defaultESG_SG_EESG_SG_EENS6_6detail15normal_iteratorINS6_10device_ptrIiEEEESN_SN_PmS8_NS6_8equal_toIiEEEE10hipError_tPvRmT2_T3_mT4_T5_T6_T7_T8_P12ihipStream_tbENKUlT_T0_E_clISt17integral_constantIbLb1EES18_EEDaS13_S14_EUlS13_E_NS1_11comp_targetILNS1_3genE3ELNS1_11target_archE908ELNS1_3gpuE7ELNS1_3repE0EEENS1_30default_config_static_selectorELNS0_4arch9wavefront6targetE0EEEvT1_.has_indirect_call, 0
	.section	.AMDGPU.csdata,"",@progbits
; Kernel info:
; codeLenInByte = 0
; TotalNumSgprs: 0
; NumVgprs: 0
; ScratchSize: 0
; MemoryBound: 0
; FloatMode: 240
; IeeeMode: 1
; LDSByteSize: 0 bytes/workgroup (compile time only)
; SGPRBlocks: 0
; VGPRBlocks: 0
; NumSGPRsForWavesPerEU: 1
; NumVGPRsForWavesPerEU: 1
; Occupancy: 16
; WaveLimiterHint : 0
; COMPUTE_PGM_RSRC2:SCRATCH_EN: 0
; COMPUTE_PGM_RSRC2:USER_SGPR: 6
; COMPUTE_PGM_RSRC2:TRAP_HANDLER: 0
; COMPUTE_PGM_RSRC2:TGID_X_EN: 1
; COMPUTE_PGM_RSRC2:TGID_Y_EN: 0
; COMPUTE_PGM_RSRC2:TGID_Z_EN: 0
; COMPUTE_PGM_RSRC2:TIDIG_COMP_CNT: 0
	.section	.text._ZN7rocprim17ROCPRIM_400000_NS6detail17trampoline_kernelINS0_14default_configENS1_29reduce_by_key_config_selectorIiiN6thrust23THRUST_200600_302600_NS4plusIiEEEEZZNS1_33reduce_by_key_impl_wrapped_configILNS1_25lookback_scan_determinismE0ES3_S9_NS6_18transform_iteratorI25linear_index_to_row_indexIiENS6_17counting_iteratorIiNS6_11use_defaultESG_SG_EESG_SG_EENS6_6detail15normal_iteratorINS6_10device_ptrIiEEEESN_SN_PmS8_NS6_8equal_toIiEEEE10hipError_tPvRmT2_T3_mT4_T5_T6_T7_T8_P12ihipStream_tbENKUlT_T0_E_clISt17integral_constantIbLb1EES18_EEDaS13_S14_EUlS13_E_NS1_11comp_targetILNS1_3genE2ELNS1_11target_archE906ELNS1_3gpuE6ELNS1_3repE0EEENS1_30default_config_static_selectorELNS0_4arch9wavefront6targetE0EEEvT1_,"axG",@progbits,_ZN7rocprim17ROCPRIM_400000_NS6detail17trampoline_kernelINS0_14default_configENS1_29reduce_by_key_config_selectorIiiN6thrust23THRUST_200600_302600_NS4plusIiEEEEZZNS1_33reduce_by_key_impl_wrapped_configILNS1_25lookback_scan_determinismE0ES3_S9_NS6_18transform_iteratorI25linear_index_to_row_indexIiENS6_17counting_iteratorIiNS6_11use_defaultESG_SG_EESG_SG_EENS6_6detail15normal_iteratorINS6_10device_ptrIiEEEESN_SN_PmS8_NS6_8equal_toIiEEEE10hipError_tPvRmT2_T3_mT4_T5_T6_T7_T8_P12ihipStream_tbENKUlT_T0_E_clISt17integral_constantIbLb1EES18_EEDaS13_S14_EUlS13_E_NS1_11comp_targetILNS1_3genE2ELNS1_11target_archE906ELNS1_3gpuE6ELNS1_3repE0EEENS1_30default_config_static_selectorELNS0_4arch9wavefront6targetE0EEEvT1_,comdat
	.protected	_ZN7rocprim17ROCPRIM_400000_NS6detail17trampoline_kernelINS0_14default_configENS1_29reduce_by_key_config_selectorIiiN6thrust23THRUST_200600_302600_NS4plusIiEEEEZZNS1_33reduce_by_key_impl_wrapped_configILNS1_25lookback_scan_determinismE0ES3_S9_NS6_18transform_iteratorI25linear_index_to_row_indexIiENS6_17counting_iteratorIiNS6_11use_defaultESG_SG_EESG_SG_EENS6_6detail15normal_iteratorINS6_10device_ptrIiEEEESN_SN_PmS8_NS6_8equal_toIiEEEE10hipError_tPvRmT2_T3_mT4_T5_T6_T7_T8_P12ihipStream_tbENKUlT_T0_E_clISt17integral_constantIbLb1EES18_EEDaS13_S14_EUlS13_E_NS1_11comp_targetILNS1_3genE2ELNS1_11target_archE906ELNS1_3gpuE6ELNS1_3repE0EEENS1_30default_config_static_selectorELNS0_4arch9wavefront6targetE0EEEvT1_ ; -- Begin function _ZN7rocprim17ROCPRIM_400000_NS6detail17trampoline_kernelINS0_14default_configENS1_29reduce_by_key_config_selectorIiiN6thrust23THRUST_200600_302600_NS4plusIiEEEEZZNS1_33reduce_by_key_impl_wrapped_configILNS1_25lookback_scan_determinismE0ES3_S9_NS6_18transform_iteratorI25linear_index_to_row_indexIiENS6_17counting_iteratorIiNS6_11use_defaultESG_SG_EESG_SG_EENS6_6detail15normal_iteratorINS6_10device_ptrIiEEEESN_SN_PmS8_NS6_8equal_toIiEEEE10hipError_tPvRmT2_T3_mT4_T5_T6_T7_T8_P12ihipStream_tbENKUlT_T0_E_clISt17integral_constantIbLb1EES18_EEDaS13_S14_EUlS13_E_NS1_11comp_targetILNS1_3genE2ELNS1_11target_archE906ELNS1_3gpuE6ELNS1_3repE0EEENS1_30default_config_static_selectorELNS0_4arch9wavefront6targetE0EEEvT1_
	.globl	_ZN7rocprim17ROCPRIM_400000_NS6detail17trampoline_kernelINS0_14default_configENS1_29reduce_by_key_config_selectorIiiN6thrust23THRUST_200600_302600_NS4plusIiEEEEZZNS1_33reduce_by_key_impl_wrapped_configILNS1_25lookback_scan_determinismE0ES3_S9_NS6_18transform_iteratorI25linear_index_to_row_indexIiENS6_17counting_iteratorIiNS6_11use_defaultESG_SG_EESG_SG_EENS6_6detail15normal_iteratorINS6_10device_ptrIiEEEESN_SN_PmS8_NS6_8equal_toIiEEEE10hipError_tPvRmT2_T3_mT4_T5_T6_T7_T8_P12ihipStream_tbENKUlT_T0_E_clISt17integral_constantIbLb1EES18_EEDaS13_S14_EUlS13_E_NS1_11comp_targetILNS1_3genE2ELNS1_11target_archE906ELNS1_3gpuE6ELNS1_3repE0EEENS1_30default_config_static_selectorELNS0_4arch9wavefront6targetE0EEEvT1_
	.p2align	8
	.type	_ZN7rocprim17ROCPRIM_400000_NS6detail17trampoline_kernelINS0_14default_configENS1_29reduce_by_key_config_selectorIiiN6thrust23THRUST_200600_302600_NS4plusIiEEEEZZNS1_33reduce_by_key_impl_wrapped_configILNS1_25lookback_scan_determinismE0ES3_S9_NS6_18transform_iteratorI25linear_index_to_row_indexIiENS6_17counting_iteratorIiNS6_11use_defaultESG_SG_EESG_SG_EENS6_6detail15normal_iteratorINS6_10device_ptrIiEEEESN_SN_PmS8_NS6_8equal_toIiEEEE10hipError_tPvRmT2_T3_mT4_T5_T6_T7_T8_P12ihipStream_tbENKUlT_T0_E_clISt17integral_constantIbLb1EES18_EEDaS13_S14_EUlS13_E_NS1_11comp_targetILNS1_3genE2ELNS1_11target_archE906ELNS1_3gpuE6ELNS1_3repE0EEENS1_30default_config_static_selectorELNS0_4arch9wavefront6targetE0EEEvT1_,@function
_ZN7rocprim17ROCPRIM_400000_NS6detail17trampoline_kernelINS0_14default_configENS1_29reduce_by_key_config_selectorIiiN6thrust23THRUST_200600_302600_NS4plusIiEEEEZZNS1_33reduce_by_key_impl_wrapped_configILNS1_25lookback_scan_determinismE0ES3_S9_NS6_18transform_iteratorI25linear_index_to_row_indexIiENS6_17counting_iteratorIiNS6_11use_defaultESG_SG_EESG_SG_EENS6_6detail15normal_iteratorINS6_10device_ptrIiEEEESN_SN_PmS8_NS6_8equal_toIiEEEE10hipError_tPvRmT2_T3_mT4_T5_T6_T7_T8_P12ihipStream_tbENKUlT_T0_E_clISt17integral_constantIbLb1EES18_EEDaS13_S14_EUlS13_E_NS1_11comp_targetILNS1_3genE2ELNS1_11target_archE906ELNS1_3gpuE6ELNS1_3repE0EEENS1_30default_config_static_selectorELNS0_4arch9wavefront6targetE0EEEvT1_: ; @_ZN7rocprim17ROCPRIM_400000_NS6detail17trampoline_kernelINS0_14default_configENS1_29reduce_by_key_config_selectorIiiN6thrust23THRUST_200600_302600_NS4plusIiEEEEZZNS1_33reduce_by_key_impl_wrapped_configILNS1_25lookback_scan_determinismE0ES3_S9_NS6_18transform_iteratorI25linear_index_to_row_indexIiENS6_17counting_iteratorIiNS6_11use_defaultESG_SG_EESG_SG_EENS6_6detail15normal_iteratorINS6_10device_ptrIiEEEESN_SN_PmS8_NS6_8equal_toIiEEEE10hipError_tPvRmT2_T3_mT4_T5_T6_T7_T8_P12ihipStream_tbENKUlT_T0_E_clISt17integral_constantIbLb1EES18_EEDaS13_S14_EUlS13_E_NS1_11comp_targetILNS1_3genE2ELNS1_11target_archE906ELNS1_3gpuE6ELNS1_3repE0EEENS1_30default_config_static_selectorELNS0_4arch9wavefront6targetE0EEEvT1_
; %bb.0:
	.section	.rodata,"a",@progbits
	.p2align	6, 0x0
	.amdhsa_kernel _ZN7rocprim17ROCPRIM_400000_NS6detail17trampoline_kernelINS0_14default_configENS1_29reduce_by_key_config_selectorIiiN6thrust23THRUST_200600_302600_NS4plusIiEEEEZZNS1_33reduce_by_key_impl_wrapped_configILNS1_25lookback_scan_determinismE0ES3_S9_NS6_18transform_iteratorI25linear_index_to_row_indexIiENS6_17counting_iteratorIiNS6_11use_defaultESG_SG_EESG_SG_EENS6_6detail15normal_iteratorINS6_10device_ptrIiEEEESN_SN_PmS8_NS6_8equal_toIiEEEE10hipError_tPvRmT2_T3_mT4_T5_T6_T7_T8_P12ihipStream_tbENKUlT_T0_E_clISt17integral_constantIbLb1EES18_EEDaS13_S14_EUlS13_E_NS1_11comp_targetILNS1_3genE2ELNS1_11target_archE906ELNS1_3gpuE6ELNS1_3repE0EEENS1_30default_config_static_selectorELNS0_4arch9wavefront6targetE0EEEvT1_
		.amdhsa_group_segment_fixed_size 0
		.amdhsa_private_segment_fixed_size 0
		.amdhsa_kernarg_size 120
		.amdhsa_user_sgpr_count 6
		.amdhsa_user_sgpr_private_segment_buffer 1
		.amdhsa_user_sgpr_dispatch_ptr 0
		.amdhsa_user_sgpr_queue_ptr 0
		.amdhsa_user_sgpr_kernarg_segment_ptr 1
		.amdhsa_user_sgpr_dispatch_id 0
		.amdhsa_user_sgpr_flat_scratch_init 0
		.amdhsa_user_sgpr_private_segment_size 0
		.amdhsa_wavefront_size32 1
		.amdhsa_uses_dynamic_stack 0
		.amdhsa_system_sgpr_private_segment_wavefront_offset 0
		.amdhsa_system_sgpr_workgroup_id_x 1
		.amdhsa_system_sgpr_workgroup_id_y 0
		.amdhsa_system_sgpr_workgroup_id_z 0
		.amdhsa_system_sgpr_workgroup_info 0
		.amdhsa_system_vgpr_workitem_id 0
		.amdhsa_next_free_vgpr 1
		.amdhsa_next_free_sgpr 1
		.amdhsa_reserve_vcc 0
		.amdhsa_reserve_flat_scratch 0
		.amdhsa_float_round_mode_32 0
		.amdhsa_float_round_mode_16_64 0
		.amdhsa_float_denorm_mode_32 3
		.amdhsa_float_denorm_mode_16_64 3
		.amdhsa_dx10_clamp 1
		.amdhsa_ieee_mode 1
		.amdhsa_fp16_overflow 0
		.amdhsa_workgroup_processor_mode 1
		.amdhsa_memory_ordered 1
		.amdhsa_forward_progress 1
		.amdhsa_shared_vgpr_count 0
		.amdhsa_exception_fp_ieee_invalid_op 0
		.amdhsa_exception_fp_denorm_src 0
		.amdhsa_exception_fp_ieee_div_zero 0
		.amdhsa_exception_fp_ieee_overflow 0
		.amdhsa_exception_fp_ieee_underflow 0
		.amdhsa_exception_fp_ieee_inexact 0
		.amdhsa_exception_int_div_zero 0
	.end_amdhsa_kernel
	.section	.text._ZN7rocprim17ROCPRIM_400000_NS6detail17trampoline_kernelINS0_14default_configENS1_29reduce_by_key_config_selectorIiiN6thrust23THRUST_200600_302600_NS4plusIiEEEEZZNS1_33reduce_by_key_impl_wrapped_configILNS1_25lookback_scan_determinismE0ES3_S9_NS6_18transform_iteratorI25linear_index_to_row_indexIiENS6_17counting_iteratorIiNS6_11use_defaultESG_SG_EESG_SG_EENS6_6detail15normal_iteratorINS6_10device_ptrIiEEEESN_SN_PmS8_NS6_8equal_toIiEEEE10hipError_tPvRmT2_T3_mT4_T5_T6_T7_T8_P12ihipStream_tbENKUlT_T0_E_clISt17integral_constantIbLb1EES18_EEDaS13_S14_EUlS13_E_NS1_11comp_targetILNS1_3genE2ELNS1_11target_archE906ELNS1_3gpuE6ELNS1_3repE0EEENS1_30default_config_static_selectorELNS0_4arch9wavefront6targetE0EEEvT1_,"axG",@progbits,_ZN7rocprim17ROCPRIM_400000_NS6detail17trampoline_kernelINS0_14default_configENS1_29reduce_by_key_config_selectorIiiN6thrust23THRUST_200600_302600_NS4plusIiEEEEZZNS1_33reduce_by_key_impl_wrapped_configILNS1_25lookback_scan_determinismE0ES3_S9_NS6_18transform_iteratorI25linear_index_to_row_indexIiENS6_17counting_iteratorIiNS6_11use_defaultESG_SG_EESG_SG_EENS6_6detail15normal_iteratorINS6_10device_ptrIiEEEESN_SN_PmS8_NS6_8equal_toIiEEEE10hipError_tPvRmT2_T3_mT4_T5_T6_T7_T8_P12ihipStream_tbENKUlT_T0_E_clISt17integral_constantIbLb1EES18_EEDaS13_S14_EUlS13_E_NS1_11comp_targetILNS1_3genE2ELNS1_11target_archE906ELNS1_3gpuE6ELNS1_3repE0EEENS1_30default_config_static_selectorELNS0_4arch9wavefront6targetE0EEEvT1_,comdat
.Lfunc_end25:
	.size	_ZN7rocprim17ROCPRIM_400000_NS6detail17trampoline_kernelINS0_14default_configENS1_29reduce_by_key_config_selectorIiiN6thrust23THRUST_200600_302600_NS4plusIiEEEEZZNS1_33reduce_by_key_impl_wrapped_configILNS1_25lookback_scan_determinismE0ES3_S9_NS6_18transform_iteratorI25linear_index_to_row_indexIiENS6_17counting_iteratorIiNS6_11use_defaultESG_SG_EESG_SG_EENS6_6detail15normal_iteratorINS6_10device_ptrIiEEEESN_SN_PmS8_NS6_8equal_toIiEEEE10hipError_tPvRmT2_T3_mT4_T5_T6_T7_T8_P12ihipStream_tbENKUlT_T0_E_clISt17integral_constantIbLb1EES18_EEDaS13_S14_EUlS13_E_NS1_11comp_targetILNS1_3genE2ELNS1_11target_archE906ELNS1_3gpuE6ELNS1_3repE0EEENS1_30default_config_static_selectorELNS0_4arch9wavefront6targetE0EEEvT1_, .Lfunc_end25-_ZN7rocprim17ROCPRIM_400000_NS6detail17trampoline_kernelINS0_14default_configENS1_29reduce_by_key_config_selectorIiiN6thrust23THRUST_200600_302600_NS4plusIiEEEEZZNS1_33reduce_by_key_impl_wrapped_configILNS1_25lookback_scan_determinismE0ES3_S9_NS6_18transform_iteratorI25linear_index_to_row_indexIiENS6_17counting_iteratorIiNS6_11use_defaultESG_SG_EESG_SG_EENS6_6detail15normal_iteratorINS6_10device_ptrIiEEEESN_SN_PmS8_NS6_8equal_toIiEEEE10hipError_tPvRmT2_T3_mT4_T5_T6_T7_T8_P12ihipStream_tbENKUlT_T0_E_clISt17integral_constantIbLb1EES18_EEDaS13_S14_EUlS13_E_NS1_11comp_targetILNS1_3genE2ELNS1_11target_archE906ELNS1_3gpuE6ELNS1_3repE0EEENS1_30default_config_static_selectorELNS0_4arch9wavefront6targetE0EEEvT1_
                                        ; -- End function
	.set _ZN7rocprim17ROCPRIM_400000_NS6detail17trampoline_kernelINS0_14default_configENS1_29reduce_by_key_config_selectorIiiN6thrust23THRUST_200600_302600_NS4plusIiEEEEZZNS1_33reduce_by_key_impl_wrapped_configILNS1_25lookback_scan_determinismE0ES3_S9_NS6_18transform_iteratorI25linear_index_to_row_indexIiENS6_17counting_iteratorIiNS6_11use_defaultESG_SG_EESG_SG_EENS6_6detail15normal_iteratorINS6_10device_ptrIiEEEESN_SN_PmS8_NS6_8equal_toIiEEEE10hipError_tPvRmT2_T3_mT4_T5_T6_T7_T8_P12ihipStream_tbENKUlT_T0_E_clISt17integral_constantIbLb1EES18_EEDaS13_S14_EUlS13_E_NS1_11comp_targetILNS1_3genE2ELNS1_11target_archE906ELNS1_3gpuE6ELNS1_3repE0EEENS1_30default_config_static_selectorELNS0_4arch9wavefront6targetE0EEEvT1_.num_vgpr, 0
	.set _ZN7rocprim17ROCPRIM_400000_NS6detail17trampoline_kernelINS0_14default_configENS1_29reduce_by_key_config_selectorIiiN6thrust23THRUST_200600_302600_NS4plusIiEEEEZZNS1_33reduce_by_key_impl_wrapped_configILNS1_25lookback_scan_determinismE0ES3_S9_NS6_18transform_iteratorI25linear_index_to_row_indexIiENS6_17counting_iteratorIiNS6_11use_defaultESG_SG_EESG_SG_EENS6_6detail15normal_iteratorINS6_10device_ptrIiEEEESN_SN_PmS8_NS6_8equal_toIiEEEE10hipError_tPvRmT2_T3_mT4_T5_T6_T7_T8_P12ihipStream_tbENKUlT_T0_E_clISt17integral_constantIbLb1EES18_EEDaS13_S14_EUlS13_E_NS1_11comp_targetILNS1_3genE2ELNS1_11target_archE906ELNS1_3gpuE6ELNS1_3repE0EEENS1_30default_config_static_selectorELNS0_4arch9wavefront6targetE0EEEvT1_.num_agpr, 0
	.set _ZN7rocprim17ROCPRIM_400000_NS6detail17trampoline_kernelINS0_14default_configENS1_29reduce_by_key_config_selectorIiiN6thrust23THRUST_200600_302600_NS4plusIiEEEEZZNS1_33reduce_by_key_impl_wrapped_configILNS1_25lookback_scan_determinismE0ES3_S9_NS6_18transform_iteratorI25linear_index_to_row_indexIiENS6_17counting_iteratorIiNS6_11use_defaultESG_SG_EESG_SG_EENS6_6detail15normal_iteratorINS6_10device_ptrIiEEEESN_SN_PmS8_NS6_8equal_toIiEEEE10hipError_tPvRmT2_T3_mT4_T5_T6_T7_T8_P12ihipStream_tbENKUlT_T0_E_clISt17integral_constantIbLb1EES18_EEDaS13_S14_EUlS13_E_NS1_11comp_targetILNS1_3genE2ELNS1_11target_archE906ELNS1_3gpuE6ELNS1_3repE0EEENS1_30default_config_static_selectorELNS0_4arch9wavefront6targetE0EEEvT1_.numbered_sgpr, 0
	.set _ZN7rocprim17ROCPRIM_400000_NS6detail17trampoline_kernelINS0_14default_configENS1_29reduce_by_key_config_selectorIiiN6thrust23THRUST_200600_302600_NS4plusIiEEEEZZNS1_33reduce_by_key_impl_wrapped_configILNS1_25lookback_scan_determinismE0ES3_S9_NS6_18transform_iteratorI25linear_index_to_row_indexIiENS6_17counting_iteratorIiNS6_11use_defaultESG_SG_EESG_SG_EENS6_6detail15normal_iteratorINS6_10device_ptrIiEEEESN_SN_PmS8_NS6_8equal_toIiEEEE10hipError_tPvRmT2_T3_mT4_T5_T6_T7_T8_P12ihipStream_tbENKUlT_T0_E_clISt17integral_constantIbLb1EES18_EEDaS13_S14_EUlS13_E_NS1_11comp_targetILNS1_3genE2ELNS1_11target_archE906ELNS1_3gpuE6ELNS1_3repE0EEENS1_30default_config_static_selectorELNS0_4arch9wavefront6targetE0EEEvT1_.num_named_barrier, 0
	.set _ZN7rocprim17ROCPRIM_400000_NS6detail17trampoline_kernelINS0_14default_configENS1_29reduce_by_key_config_selectorIiiN6thrust23THRUST_200600_302600_NS4plusIiEEEEZZNS1_33reduce_by_key_impl_wrapped_configILNS1_25lookback_scan_determinismE0ES3_S9_NS6_18transform_iteratorI25linear_index_to_row_indexIiENS6_17counting_iteratorIiNS6_11use_defaultESG_SG_EESG_SG_EENS6_6detail15normal_iteratorINS6_10device_ptrIiEEEESN_SN_PmS8_NS6_8equal_toIiEEEE10hipError_tPvRmT2_T3_mT4_T5_T6_T7_T8_P12ihipStream_tbENKUlT_T0_E_clISt17integral_constantIbLb1EES18_EEDaS13_S14_EUlS13_E_NS1_11comp_targetILNS1_3genE2ELNS1_11target_archE906ELNS1_3gpuE6ELNS1_3repE0EEENS1_30default_config_static_selectorELNS0_4arch9wavefront6targetE0EEEvT1_.private_seg_size, 0
	.set _ZN7rocprim17ROCPRIM_400000_NS6detail17trampoline_kernelINS0_14default_configENS1_29reduce_by_key_config_selectorIiiN6thrust23THRUST_200600_302600_NS4plusIiEEEEZZNS1_33reduce_by_key_impl_wrapped_configILNS1_25lookback_scan_determinismE0ES3_S9_NS6_18transform_iteratorI25linear_index_to_row_indexIiENS6_17counting_iteratorIiNS6_11use_defaultESG_SG_EESG_SG_EENS6_6detail15normal_iteratorINS6_10device_ptrIiEEEESN_SN_PmS8_NS6_8equal_toIiEEEE10hipError_tPvRmT2_T3_mT4_T5_T6_T7_T8_P12ihipStream_tbENKUlT_T0_E_clISt17integral_constantIbLb1EES18_EEDaS13_S14_EUlS13_E_NS1_11comp_targetILNS1_3genE2ELNS1_11target_archE906ELNS1_3gpuE6ELNS1_3repE0EEENS1_30default_config_static_selectorELNS0_4arch9wavefront6targetE0EEEvT1_.uses_vcc, 0
	.set _ZN7rocprim17ROCPRIM_400000_NS6detail17trampoline_kernelINS0_14default_configENS1_29reduce_by_key_config_selectorIiiN6thrust23THRUST_200600_302600_NS4plusIiEEEEZZNS1_33reduce_by_key_impl_wrapped_configILNS1_25lookback_scan_determinismE0ES3_S9_NS6_18transform_iteratorI25linear_index_to_row_indexIiENS6_17counting_iteratorIiNS6_11use_defaultESG_SG_EESG_SG_EENS6_6detail15normal_iteratorINS6_10device_ptrIiEEEESN_SN_PmS8_NS6_8equal_toIiEEEE10hipError_tPvRmT2_T3_mT4_T5_T6_T7_T8_P12ihipStream_tbENKUlT_T0_E_clISt17integral_constantIbLb1EES18_EEDaS13_S14_EUlS13_E_NS1_11comp_targetILNS1_3genE2ELNS1_11target_archE906ELNS1_3gpuE6ELNS1_3repE0EEENS1_30default_config_static_selectorELNS0_4arch9wavefront6targetE0EEEvT1_.uses_flat_scratch, 0
	.set _ZN7rocprim17ROCPRIM_400000_NS6detail17trampoline_kernelINS0_14default_configENS1_29reduce_by_key_config_selectorIiiN6thrust23THRUST_200600_302600_NS4plusIiEEEEZZNS1_33reduce_by_key_impl_wrapped_configILNS1_25lookback_scan_determinismE0ES3_S9_NS6_18transform_iteratorI25linear_index_to_row_indexIiENS6_17counting_iteratorIiNS6_11use_defaultESG_SG_EESG_SG_EENS6_6detail15normal_iteratorINS6_10device_ptrIiEEEESN_SN_PmS8_NS6_8equal_toIiEEEE10hipError_tPvRmT2_T3_mT4_T5_T6_T7_T8_P12ihipStream_tbENKUlT_T0_E_clISt17integral_constantIbLb1EES18_EEDaS13_S14_EUlS13_E_NS1_11comp_targetILNS1_3genE2ELNS1_11target_archE906ELNS1_3gpuE6ELNS1_3repE0EEENS1_30default_config_static_selectorELNS0_4arch9wavefront6targetE0EEEvT1_.has_dyn_sized_stack, 0
	.set _ZN7rocprim17ROCPRIM_400000_NS6detail17trampoline_kernelINS0_14default_configENS1_29reduce_by_key_config_selectorIiiN6thrust23THRUST_200600_302600_NS4plusIiEEEEZZNS1_33reduce_by_key_impl_wrapped_configILNS1_25lookback_scan_determinismE0ES3_S9_NS6_18transform_iteratorI25linear_index_to_row_indexIiENS6_17counting_iteratorIiNS6_11use_defaultESG_SG_EESG_SG_EENS6_6detail15normal_iteratorINS6_10device_ptrIiEEEESN_SN_PmS8_NS6_8equal_toIiEEEE10hipError_tPvRmT2_T3_mT4_T5_T6_T7_T8_P12ihipStream_tbENKUlT_T0_E_clISt17integral_constantIbLb1EES18_EEDaS13_S14_EUlS13_E_NS1_11comp_targetILNS1_3genE2ELNS1_11target_archE906ELNS1_3gpuE6ELNS1_3repE0EEENS1_30default_config_static_selectorELNS0_4arch9wavefront6targetE0EEEvT1_.has_recursion, 0
	.set _ZN7rocprim17ROCPRIM_400000_NS6detail17trampoline_kernelINS0_14default_configENS1_29reduce_by_key_config_selectorIiiN6thrust23THRUST_200600_302600_NS4plusIiEEEEZZNS1_33reduce_by_key_impl_wrapped_configILNS1_25lookback_scan_determinismE0ES3_S9_NS6_18transform_iteratorI25linear_index_to_row_indexIiENS6_17counting_iteratorIiNS6_11use_defaultESG_SG_EESG_SG_EENS6_6detail15normal_iteratorINS6_10device_ptrIiEEEESN_SN_PmS8_NS6_8equal_toIiEEEE10hipError_tPvRmT2_T3_mT4_T5_T6_T7_T8_P12ihipStream_tbENKUlT_T0_E_clISt17integral_constantIbLb1EES18_EEDaS13_S14_EUlS13_E_NS1_11comp_targetILNS1_3genE2ELNS1_11target_archE906ELNS1_3gpuE6ELNS1_3repE0EEENS1_30default_config_static_selectorELNS0_4arch9wavefront6targetE0EEEvT1_.has_indirect_call, 0
	.section	.AMDGPU.csdata,"",@progbits
; Kernel info:
; codeLenInByte = 0
; TotalNumSgprs: 0
; NumVgprs: 0
; ScratchSize: 0
; MemoryBound: 0
; FloatMode: 240
; IeeeMode: 1
; LDSByteSize: 0 bytes/workgroup (compile time only)
; SGPRBlocks: 0
; VGPRBlocks: 0
; NumSGPRsForWavesPerEU: 1
; NumVGPRsForWavesPerEU: 1
; Occupancy: 16
; WaveLimiterHint : 0
; COMPUTE_PGM_RSRC2:SCRATCH_EN: 0
; COMPUTE_PGM_RSRC2:USER_SGPR: 6
; COMPUTE_PGM_RSRC2:TRAP_HANDLER: 0
; COMPUTE_PGM_RSRC2:TGID_X_EN: 1
; COMPUTE_PGM_RSRC2:TGID_Y_EN: 0
; COMPUTE_PGM_RSRC2:TGID_Z_EN: 0
; COMPUTE_PGM_RSRC2:TIDIG_COMP_CNT: 0
	.section	.text._ZN7rocprim17ROCPRIM_400000_NS6detail17trampoline_kernelINS0_14default_configENS1_29reduce_by_key_config_selectorIiiN6thrust23THRUST_200600_302600_NS4plusIiEEEEZZNS1_33reduce_by_key_impl_wrapped_configILNS1_25lookback_scan_determinismE0ES3_S9_NS6_18transform_iteratorI25linear_index_to_row_indexIiENS6_17counting_iteratorIiNS6_11use_defaultESG_SG_EESG_SG_EENS6_6detail15normal_iteratorINS6_10device_ptrIiEEEESN_SN_PmS8_NS6_8equal_toIiEEEE10hipError_tPvRmT2_T3_mT4_T5_T6_T7_T8_P12ihipStream_tbENKUlT_T0_E_clISt17integral_constantIbLb1EES18_EEDaS13_S14_EUlS13_E_NS1_11comp_targetILNS1_3genE10ELNS1_11target_archE1201ELNS1_3gpuE5ELNS1_3repE0EEENS1_30default_config_static_selectorELNS0_4arch9wavefront6targetE0EEEvT1_,"axG",@progbits,_ZN7rocprim17ROCPRIM_400000_NS6detail17trampoline_kernelINS0_14default_configENS1_29reduce_by_key_config_selectorIiiN6thrust23THRUST_200600_302600_NS4plusIiEEEEZZNS1_33reduce_by_key_impl_wrapped_configILNS1_25lookback_scan_determinismE0ES3_S9_NS6_18transform_iteratorI25linear_index_to_row_indexIiENS6_17counting_iteratorIiNS6_11use_defaultESG_SG_EESG_SG_EENS6_6detail15normal_iteratorINS6_10device_ptrIiEEEESN_SN_PmS8_NS6_8equal_toIiEEEE10hipError_tPvRmT2_T3_mT4_T5_T6_T7_T8_P12ihipStream_tbENKUlT_T0_E_clISt17integral_constantIbLb1EES18_EEDaS13_S14_EUlS13_E_NS1_11comp_targetILNS1_3genE10ELNS1_11target_archE1201ELNS1_3gpuE5ELNS1_3repE0EEENS1_30default_config_static_selectorELNS0_4arch9wavefront6targetE0EEEvT1_,comdat
	.protected	_ZN7rocprim17ROCPRIM_400000_NS6detail17trampoline_kernelINS0_14default_configENS1_29reduce_by_key_config_selectorIiiN6thrust23THRUST_200600_302600_NS4plusIiEEEEZZNS1_33reduce_by_key_impl_wrapped_configILNS1_25lookback_scan_determinismE0ES3_S9_NS6_18transform_iteratorI25linear_index_to_row_indexIiENS6_17counting_iteratorIiNS6_11use_defaultESG_SG_EESG_SG_EENS6_6detail15normal_iteratorINS6_10device_ptrIiEEEESN_SN_PmS8_NS6_8equal_toIiEEEE10hipError_tPvRmT2_T3_mT4_T5_T6_T7_T8_P12ihipStream_tbENKUlT_T0_E_clISt17integral_constantIbLb1EES18_EEDaS13_S14_EUlS13_E_NS1_11comp_targetILNS1_3genE10ELNS1_11target_archE1201ELNS1_3gpuE5ELNS1_3repE0EEENS1_30default_config_static_selectorELNS0_4arch9wavefront6targetE0EEEvT1_ ; -- Begin function _ZN7rocprim17ROCPRIM_400000_NS6detail17trampoline_kernelINS0_14default_configENS1_29reduce_by_key_config_selectorIiiN6thrust23THRUST_200600_302600_NS4plusIiEEEEZZNS1_33reduce_by_key_impl_wrapped_configILNS1_25lookback_scan_determinismE0ES3_S9_NS6_18transform_iteratorI25linear_index_to_row_indexIiENS6_17counting_iteratorIiNS6_11use_defaultESG_SG_EESG_SG_EENS6_6detail15normal_iteratorINS6_10device_ptrIiEEEESN_SN_PmS8_NS6_8equal_toIiEEEE10hipError_tPvRmT2_T3_mT4_T5_T6_T7_T8_P12ihipStream_tbENKUlT_T0_E_clISt17integral_constantIbLb1EES18_EEDaS13_S14_EUlS13_E_NS1_11comp_targetILNS1_3genE10ELNS1_11target_archE1201ELNS1_3gpuE5ELNS1_3repE0EEENS1_30default_config_static_selectorELNS0_4arch9wavefront6targetE0EEEvT1_
	.globl	_ZN7rocprim17ROCPRIM_400000_NS6detail17trampoline_kernelINS0_14default_configENS1_29reduce_by_key_config_selectorIiiN6thrust23THRUST_200600_302600_NS4plusIiEEEEZZNS1_33reduce_by_key_impl_wrapped_configILNS1_25lookback_scan_determinismE0ES3_S9_NS6_18transform_iteratorI25linear_index_to_row_indexIiENS6_17counting_iteratorIiNS6_11use_defaultESG_SG_EESG_SG_EENS6_6detail15normal_iteratorINS6_10device_ptrIiEEEESN_SN_PmS8_NS6_8equal_toIiEEEE10hipError_tPvRmT2_T3_mT4_T5_T6_T7_T8_P12ihipStream_tbENKUlT_T0_E_clISt17integral_constantIbLb1EES18_EEDaS13_S14_EUlS13_E_NS1_11comp_targetILNS1_3genE10ELNS1_11target_archE1201ELNS1_3gpuE5ELNS1_3repE0EEENS1_30default_config_static_selectorELNS0_4arch9wavefront6targetE0EEEvT1_
	.p2align	8
	.type	_ZN7rocprim17ROCPRIM_400000_NS6detail17trampoline_kernelINS0_14default_configENS1_29reduce_by_key_config_selectorIiiN6thrust23THRUST_200600_302600_NS4plusIiEEEEZZNS1_33reduce_by_key_impl_wrapped_configILNS1_25lookback_scan_determinismE0ES3_S9_NS6_18transform_iteratorI25linear_index_to_row_indexIiENS6_17counting_iteratorIiNS6_11use_defaultESG_SG_EESG_SG_EENS6_6detail15normal_iteratorINS6_10device_ptrIiEEEESN_SN_PmS8_NS6_8equal_toIiEEEE10hipError_tPvRmT2_T3_mT4_T5_T6_T7_T8_P12ihipStream_tbENKUlT_T0_E_clISt17integral_constantIbLb1EES18_EEDaS13_S14_EUlS13_E_NS1_11comp_targetILNS1_3genE10ELNS1_11target_archE1201ELNS1_3gpuE5ELNS1_3repE0EEENS1_30default_config_static_selectorELNS0_4arch9wavefront6targetE0EEEvT1_,@function
_ZN7rocprim17ROCPRIM_400000_NS6detail17trampoline_kernelINS0_14default_configENS1_29reduce_by_key_config_selectorIiiN6thrust23THRUST_200600_302600_NS4plusIiEEEEZZNS1_33reduce_by_key_impl_wrapped_configILNS1_25lookback_scan_determinismE0ES3_S9_NS6_18transform_iteratorI25linear_index_to_row_indexIiENS6_17counting_iteratorIiNS6_11use_defaultESG_SG_EESG_SG_EENS6_6detail15normal_iteratorINS6_10device_ptrIiEEEESN_SN_PmS8_NS6_8equal_toIiEEEE10hipError_tPvRmT2_T3_mT4_T5_T6_T7_T8_P12ihipStream_tbENKUlT_T0_E_clISt17integral_constantIbLb1EES18_EEDaS13_S14_EUlS13_E_NS1_11comp_targetILNS1_3genE10ELNS1_11target_archE1201ELNS1_3gpuE5ELNS1_3repE0EEENS1_30default_config_static_selectorELNS0_4arch9wavefront6targetE0EEEvT1_: ; @_ZN7rocprim17ROCPRIM_400000_NS6detail17trampoline_kernelINS0_14default_configENS1_29reduce_by_key_config_selectorIiiN6thrust23THRUST_200600_302600_NS4plusIiEEEEZZNS1_33reduce_by_key_impl_wrapped_configILNS1_25lookback_scan_determinismE0ES3_S9_NS6_18transform_iteratorI25linear_index_to_row_indexIiENS6_17counting_iteratorIiNS6_11use_defaultESG_SG_EESG_SG_EENS6_6detail15normal_iteratorINS6_10device_ptrIiEEEESN_SN_PmS8_NS6_8equal_toIiEEEE10hipError_tPvRmT2_T3_mT4_T5_T6_T7_T8_P12ihipStream_tbENKUlT_T0_E_clISt17integral_constantIbLb1EES18_EEDaS13_S14_EUlS13_E_NS1_11comp_targetILNS1_3genE10ELNS1_11target_archE1201ELNS1_3gpuE5ELNS1_3repE0EEENS1_30default_config_static_selectorELNS0_4arch9wavefront6targetE0EEEvT1_
; %bb.0:
	.section	.rodata,"a",@progbits
	.p2align	6, 0x0
	.amdhsa_kernel _ZN7rocprim17ROCPRIM_400000_NS6detail17trampoline_kernelINS0_14default_configENS1_29reduce_by_key_config_selectorIiiN6thrust23THRUST_200600_302600_NS4plusIiEEEEZZNS1_33reduce_by_key_impl_wrapped_configILNS1_25lookback_scan_determinismE0ES3_S9_NS6_18transform_iteratorI25linear_index_to_row_indexIiENS6_17counting_iteratorIiNS6_11use_defaultESG_SG_EESG_SG_EENS6_6detail15normal_iteratorINS6_10device_ptrIiEEEESN_SN_PmS8_NS6_8equal_toIiEEEE10hipError_tPvRmT2_T3_mT4_T5_T6_T7_T8_P12ihipStream_tbENKUlT_T0_E_clISt17integral_constantIbLb1EES18_EEDaS13_S14_EUlS13_E_NS1_11comp_targetILNS1_3genE10ELNS1_11target_archE1201ELNS1_3gpuE5ELNS1_3repE0EEENS1_30default_config_static_selectorELNS0_4arch9wavefront6targetE0EEEvT1_
		.amdhsa_group_segment_fixed_size 0
		.amdhsa_private_segment_fixed_size 0
		.amdhsa_kernarg_size 120
		.amdhsa_user_sgpr_count 6
		.amdhsa_user_sgpr_private_segment_buffer 1
		.amdhsa_user_sgpr_dispatch_ptr 0
		.amdhsa_user_sgpr_queue_ptr 0
		.amdhsa_user_sgpr_kernarg_segment_ptr 1
		.amdhsa_user_sgpr_dispatch_id 0
		.amdhsa_user_sgpr_flat_scratch_init 0
		.amdhsa_user_sgpr_private_segment_size 0
		.amdhsa_wavefront_size32 1
		.amdhsa_uses_dynamic_stack 0
		.amdhsa_system_sgpr_private_segment_wavefront_offset 0
		.amdhsa_system_sgpr_workgroup_id_x 1
		.amdhsa_system_sgpr_workgroup_id_y 0
		.amdhsa_system_sgpr_workgroup_id_z 0
		.amdhsa_system_sgpr_workgroup_info 0
		.amdhsa_system_vgpr_workitem_id 0
		.amdhsa_next_free_vgpr 1
		.amdhsa_next_free_sgpr 1
		.amdhsa_reserve_vcc 0
		.amdhsa_reserve_flat_scratch 0
		.amdhsa_float_round_mode_32 0
		.amdhsa_float_round_mode_16_64 0
		.amdhsa_float_denorm_mode_32 3
		.amdhsa_float_denorm_mode_16_64 3
		.amdhsa_dx10_clamp 1
		.amdhsa_ieee_mode 1
		.amdhsa_fp16_overflow 0
		.amdhsa_workgroup_processor_mode 1
		.amdhsa_memory_ordered 1
		.amdhsa_forward_progress 1
		.amdhsa_shared_vgpr_count 0
		.amdhsa_exception_fp_ieee_invalid_op 0
		.amdhsa_exception_fp_denorm_src 0
		.amdhsa_exception_fp_ieee_div_zero 0
		.amdhsa_exception_fp_ieee_overflow 0
		.amdhsa_exception_fp_ieee_underflow 0
		.amdhsa_exception_fp_ieee_inexact 0
		.amdhsa_exception_int_div_zero 0
	.end_amdhsa_kernel
	.section	.text._ZN7rocprim17ROCPRIM_400000_NS6detail17trampoline_kernelINS0_14default_configENS1_29reduce_by_key_config_selectorIiiN6thrust23THRUST_200600_302600_NS4plusIiEEEEZZNS1_33reduce_by_key_impl_wrapped_configILNS1_25lookback_scan_determinismE0ES3_S9_NS6_18transform_iteratorI25linear_index_to_row_indexIiENS6_17counting_iteratorIiNS6_11use_defaultESG_SG_EESG_SG_EENS6_6detail15normal_iteratorINS6_10device_ptrIiEEEESN_SN_PmS8_NS6_8equal_toIiEEEE10hipError_tPvRmT2_T3_mT4_T5_T6_T7_T8_P12ihipStream_tbENKUlT_T0_E_clISt17integral_constantIbLb1EES18_EEDaS13_S14_EUlS13_E_NS1_11comp_targetILNS1_3genE10ELNS1_11target_archE1201ELNS1_3gpuE5ELNS1_3repE0EEENS1_30default_config_static_selectorELNS0_4arch9wavefront6targetE0EEEvT1_,"axG",@progbits,_ZN7rocprim17ROCPRIM_400000_NS6detail17trampoline_kernelINS0_14default_configENS1_29reduce_by_key_config_selectorIiiN6thrust23THRUST_200600_302600_NS4plusIiEEEEZZNS1_33reduce_by_key_impl_wrapped_configILNS1_25lookback_scan_determinismE0ES3_S9_NS6_18transform_iteratorI25linear_index_to_row_indexIiENS6_17counting_iteratorIiNS6_11use_defaultESG_SG_EESG_SG_EENS6_6detail15normal_iteratorINS6_10device_ptrIiEEEESN_SN_PmS8_NS6_8equal_toIiEEEE10hipError_tPvRmT2_T3_mT4_T5_T6_T7_T8_P12ihipStream_tbENKUlT_T0_E_clISt17integral_constantIbLb1EES18_EEDaS13_S14_EUlS13_E_NS1_11comp_targetILNS1_3genE10ELNS1_11target_archE1201ELNS1_3gpuE5ELNS1_3repE0EEENS1_30default_config_static_selectorELNS0_4arch9wavefront6targetE0EEEvT1_,comdat
.Lfunc_end26:
	.size	_ZN7rocprim17ROCPRIM_400000_NS6detail17trampoline_kernelINS0_14default_configENS1_29reduce_by_key_config_selectorIiiN6thrust23THRUST_200600_302600_NS4plusIiEEEEZZNS1_33reduce_by_key_impl_wrapped_configILNS1_25lookback_scan_determinismE0ES3_S9_NS6_18transform_iteratorI25linear_index_to_row_indexIiENS6_17counting_iteratorIiNS6_11use_defaultESG_SG_EESG_SG_EENS6_6detail15normal_iteratorINS6_10device_ptrIiEEEESN_SN_PmS8_NS6_8equal_toIiEEEE10hipError_tPvRmT2_T3_mT4_T5_T6_T7_T8_P12ihipStream_tbENKUlT_T0_E_clISt17integral_constantIbLb1EES18_EEDaS13_S14_EUlS13_E_NS1_11comp_targetILNS1_3genE10ELNS1_11target_archE1201ELNS1_3gpuE5ELNS1_3repE0EEENS1_30default_config_static_selectorELNS0_4arch9wavefront6targetE0EEEvT1_, .Lfunc_end26-_ZN7rocprim17ROCPRIM_400000_NS6detail17trampoline_kernelINS0_14default_configENS1_29reduce_by_key_config_selectorIiiN6thrust23THRUST_200600_302600_NS4plusIiEEEEZZNS1_33reduce_by_key_impl_wrapped_configILNS1_25lookback_scan_determinismE0ES3_S9_NS6_18transform_iteratorI25linear_index_to_row_indexIiENS6_17counting_iteratorIiNS6_11use_defaultESG_SG_EESG_SG_EENS6_6detail15normal_iteratorINS6_10device_ptrIiEEEESN_SN_PmS8_NS6_8equal_toIiEEEE10hipError_tPvRmT2_T3_mT4_T5_T6_T7_T8_P12ihipStream_tbENKUlT_T0_E_clISt17integral_constantIbLb1EES18_EEDaS13_S14_EUlS13_E_NS1_11comp_targetILNS1_3genE10ELNS1_11target_archE1201ELNS1_3gpuE5ELNS1_3repE0EEENS1_30default_config_static_selectorELNS0_4arch9wavefront6targetE0EEEvT1_
                                        ; -- End function
	.set _ZN7rocprim17ROCPRIM_400000_NS6detail17trampoline_kernelINS0_14default_configENS1_29reduce_by_key_config_selectorIiiN6thrust23THRUST_200600_302600_NS4plusIiEEEEZZNS1_33reduce_by_key_impl_wrapped_configILNS1_25lookback_scan_determinismE0ES3_S9_NS6_18transform_iteratorI25linear_index_to_row_indexIiENS6_17counting_iteratorIiNS6_11use_defaultESG_SG_EESG_SG_EENS6_6detail15normal_iteratorINS6_10device_ptrIiEEEESN_SN_PmS8_NS6_8equal_toIiEEEE10hipError_tPvRmT2_T3_mT4_T5_T6_T7_T8_P12ihipStream_tbENKUlT_T0_E_clISt17integral_constantIbLb1EES18_EEDaS13_S14_EUlS13_E_NS1_11comp_targetILNS1_3genE10ELNS1_11target_archE1201ELNS1_3gpuE5ELNS1_3repE0EEENS1_30default_config_static_selectorELNS0_4arch9wavefront6targetE0EEEvT1_.num_vgpr, 0
	.set _ZN7rocprim17ROCPRIM_400000_NS6detail17trampoline_kernelINS0_14default_configENS1_29reduce_by_key_config_selectorIiiN6thrust23THRUST_200600_302600_NS4plusIiEEEEZZNS1_33reduce_by_key_impl_wrapped_configILNS1_25lookback_scan_determinismE0ES3_S9_NS6_18transform_iteratorI25linear_index_to_row_indexIiENS6_17counting_iteratorIiNS6_11use_defaultESG_SG_EESG_SG_EENS6_6detail15normal_iteratorINS6_10device_ptrIiEEEESN_SN_PmS8_NS6_8equal_toIiEEEE10hipError_tPvRmT2_T3_mT4_T5_T6_T7_T8_P12ihipStream_tbENKUlT_T0_E_clISt17integral_constantIbLb1EES18_EEDaS13_S14_EUlS13_E_NS1_11comp_targetILNS1_3genE10ELNS1_11target_archE1201ELNS1_3gpuE5ELNS1_3repE0EEENS1_30default_config_static_selectorELNS0_4arch9wavefront6targetE0EEEvT1_.num_agpr, 0
	.set _ZN7rocprim17ROCPRIM_400000_NS6detail17trampoline_kernelINS0_14default_configENS1_29reduce_by_key_config_selectorIiiN6thrust23THRUST_200600_302600_NS4plusIiEEEEZZNS1_33reduce_by_key_impl_wrapped_configILNS1_25lookback_scan_determinismE0ES3_S9_NS6_18transform_iteratorI25linear_index_to_row_indexIiENS6_17counting_iteratorIiNS6_11use_defaultESG_SG_EESG_SG_EENS6_6detail15normal_iteratorINS6_10device_ptrIiEEEESN_SN_PmS8_NS6_8equal_toIiEEEE10hipError_tPvRmT2_T3_mT4_T5_T6_T7_T8_P12ihipStream_tbENKUlT_T0_E_clISt17integral_constantIbLb1EES18_EEDaS13_S14_EUlS13_E_NS1_11comp_targetILNS1_3genE10ELNS1_11target_archE1201ELNS1_3gpuE5ELNS1_3repE0EEENS1_30default_config_static_selectorELNS0_4arch9wavefront6targetE0EEEvT1_.numbered_sgpr, 0
	.set _ZN7rocprim17ROCPRIM_400000_NS6detail17trampoline_kernelINS0_14default_configENS1_29reduce_by_key_config_selectorIiiN6thrust23THRUST_200600_302600_NS4plusIiEEEEZZNS1_33reduce_by_key_impl_wrapped_configILNS1_25lookback_scan_determinismE0ES3_S9_NS6_18transform_iteratorI25linear_index_to_row_indexIiENS6_17counting_iteratorIiNS6_11use_defaultESG_SG_EESG_SG_EENS6_6detail15normal_iteratorINS6_10device_ptrIiEEEESN_SN_PmS8_NS6_8equal_toIiEEEE10hipError_tPvRmT2_T3_mT4_T5_T6_T7_T8_P12ihipStream_tbENKUlT_T0_E_clISt17integral_constantIbLb1EES18_EEDaS13_S14_EUlS13_E_NS1_11comp_targetILNS1_3genE10ELNS1_11target_archE1201ELNS1_3gpuE5ELNS1_3repE0EEENS1_30default_config_static_selectorELNS0_4arch9wavefront6targetE0EEEvT1_.num_named_barrier, 0
	.set _ZN7rocprim17ROCPRIM_400000_NS6detail17trampoline_kernelINS0_14default_configENS1_29reduce_by_key_config_selectorIiiN6thrust23THRUST_200600_302600_NS4plusIiEEEEZZNS1_33reduce_by_key_impl_wrapped_configILNS1_25lookback_scan_determinismE0ES3_S9_NS6_18transform_iteratorI25linear_index_to_row_indexIiENS6_17counting_iteratorIiNS6_11use_defaultESG_SG_EESG_SG_EENS6_6detail15normal_iteratorINS6_10device_ptrIiEEEESN_SN_PmS8_NS6_8equal_toIiEEEE10hipError_tPvRmT2_T3_mT4_T5_T6_T7_T8_P12ihipStream_tbENKUlT_T0_E_clISt17integral_constantIbLb1EES18_EEDaS13_S14_EUlS13_E_NS1_11comp_targetILNS1_3genE10ELNS1_11target_archE1201ELNS1_3gpuE5ELNS1_3repE0EEENS1_30default_config_static_selectorELNS0_4arch9wavefront6targetE0EEEvT1_.private_seg_size, 0
	.set _ZN7rocprim17ROCPRIM_400000_NS6detail17trampoline_kernelINS0_14default_configENS1_29reduce_by_key_config_selectorIiiN6thrust23THRUST_200600_302600_NS4plusIiEEEEZZNS1_33reduce_by_key_impl_wrapped_configILNS1_25lookback_scan_determinismE0ES3_S9_NS6_18transform_iteratorI25linear_index_to_row_indexIiENS6_17counting_iteratorIiNS6_11use_defaultESG_SG_EESG_SG_EENS6_6detail15normal_iteratorINS6_10device_ptrIiEEEESN_SN_PmS8_NS6_8equal_toIiEEEE10hipError_tPvRmT2_T3_mT4_T5_T6_T7_T8_P12ihipStream_tbENKUlT_T0_E_clISt17integral_constantIbLb1EES18_EEDaS13_S14_EUlS13_E_NS1_11comp_targetILNS1_3genE10ELNS1_11target_archE1201ELNS1_3gpuE5ELNS1_3repE0EEENS1_30default_config_static_selectorELNS0_4arch9wavefront6targetE0EEEvT1_.uses_vcc, 0
	.set _ZN7rocprim17ROCPRIM_400000_NS6detail17trampoline_kernelINS0_14default_configENS1_29reduce_by_key_config_selectorIiiN6thrust23THRUST_200600_302600_NS4plusIiEEEEZZNS1_33reduce_by_key_impl_wrapped_configILNS1_25lookback_scan_determinismE0ES3_S9_NS6_18transform_iteratorI25linear_index_to_row_indexIiENS6_17counting_iteratorIiNS6_11use_defaultESG_SG_EESG_SG_EENS6_6detail15normal_iteratorINS6_10device_ptrIiEEEESN_SN_PmS8_NS6_8equal_toIiEEEE10hipError_tPvRmT2_T3_mT4_T5_T6_T7_T8_P12ihipStream_tbENKUlT_T0_E_clISt17integral_constantIbLb1EES18_EEDaS13_S14_EUlS13_E_NS1_11comp_targetILNS1_3genE10ELNS1_11target_archE1201ELNS1_3gpuE5ELNS1_3repE0EEENS1_30default_config_static_selectorELNS0_4arch9wavefront6targetE0EEEvT1_.uses_flat_scratch, 0
	.set _ZN7rocprim17ROCPRIM_400000_NS6detail17trampoline_kernelINS0_14default_configENS1_29reduce_by_key_config_selectorIiiN6thrust23THRUST_200600_302600_NS4plusIiEEEEZZNS1_33reduce_by_key_impl_wrapped_configILNS1_25lookback_scan_determinismE0ES3_S9_NS6_18transform_iteratorI25linear_index_to_row_indexIiENS6_17counting_iteratorIiNS6_11use_defaultESG_SG_EESG_SG_EENS6_6detail15normal_iteratorINS6_10device_ptrIiEEEESN_SN_PmS8_NS6_8equal_toIiEEEE10hipError_tPvRmT2_T3_mT4_T5_T6_T7_T8_P12ihipStream_tbENKUlT_T0_E_clISt17integral_constantIbLb1EES18_EEDaS13_S14_EUlS13_E_NS1_11comp_targetILNS1_3genE10ELNS1_11target_archE1201ELNS1_3gpuE5ELNS1_3repE0EEENS1_30default_config_static_selectorELNS0_4arch9wavefront6targetE0EEEvT1_.has_dyn_sized_stack, 0
	.set _ZN7rocprim17ROCPRIM_400000_NS6detail17trampoline_kernelINS0_14default_configENS1_29reduce_by_key_config_selectorIiiN6thrust23THRUST_200600_302600_NS4plusIiEEEEZZNS1_33reduce_by_key_impl_wrapped_configILNS1_25lookback_scan_determinismE0ES3_S9_NS6_18transform_iteratorI25linear_index_to_row_indexIiENS6_17counting_iteratorIiNS6_11use_defaultESG_SG_EESG_SG_EENS6_6detail15normal_iteratorINS6_10device_ptrIiEEEESN_SN_PmS8_NS6_8equal_toIiEEEE10hipError_tPvRmT2_T3_mT4_T5_T6_T7_T8_P12ihipStream_tbENKUlT_T0_E_clISt17integral_constantIbLb1EES18_EEDaS13_S14_EUlS13_E_NS1_11comp_targetILNS1_3genE10ELNS1_11target_archE1201ELNS1_3gpuE5ELNS1_3repE0EEENS1_30default_config_static_selectorELNS0_4arch9wavefront6targetE0EEEvT1_.has_recursion, 0
	.set _ZN7rocprim17ROCPRIM_400000_NS6detail17trampoline_kernelINS0_14default_configENS1_29reduce_by_key_config_selectorIiiN6thrust23THRUST_200600_302600_NS4plusIiEEEEZZNS1_33reduce_by_key_impl_wrapped_configILNS1_25lookback_scan_determinismE0ES3_S9_NS6_18transform_iteratorI25linear_index_to_row_indexIiENS6_17counting_iteratorIiNS6_11use_defaultESG_SG_EESG_SG_EENS6_6detail15normal_iteratorINS6_10device_ptrIiEEEESN_SN_PmS8_NS6_8equal_toIiEEEE10hipError_tPvRmT2_T3_mT4_T5_T6_T7_T8_P12ihipStream_tbENKUlT_T0_E_clISt17integral_constantIbLb1EES18_EEDaS13_S14_EUlS13_E_NS1_11comp_targetILNS1_3genE10ELNS1_11target_archE1201ELNS1_3gpuE5ELNS1_3repE0EEENS1_30default_config_static_selectorELNS0_4arch9wavefront6targetE0EEEvT1_.has_indirect_call, 0
	.section	.AMDGPU.csdata,"",@progbits
; Kernel info:
; codeLenInByte = 0
; TotalNumSgprs: 0
; NumVgprs: 0
; ScratchSize: 0
; MemoryBound: 0
; FloatMode: 240
; IeeeMode: 1
; LDSByteSize: 0 bytes/workgroup (compile time only)
; SGPRBlocks: 0
; VGPRBlocks: 0
; NumSGPRsForWavesPerEU: 1
; NumVGPRsForWavesPerEU: 1
; Occupancy: 16
; WaveLimiterHint : 0
; COMPUTE_PGM_RSRC2:SCRATCH_EN: 0
; COMPUTE_PGM_RSRC2:USER_SGPR: 6
; COMPUTE_PGM_RSRC2:TRAP_HANDLER: 0
; COMPUTE_PGM_RSRC2:TGID_X_EN: 1
; COMPUTE_PGM_RSRC2:TGID_Y_EN: 0
; COMPUTE_PGM_RSRC2:TGID_Z_EN: 0
; COMPUTE_PGM_RSRC2:TIDIG_COMP_CNT: 0
	.section	.text._ZN7rocprim17ROCPRIM_400000_NS6detail17trampoline_kernelINS0_14default_configENS1_29reduce_by_key_config_selectorIiiN6thrust23THRUST_200600_302600_NS4plusIiEEEEZZNS1_33reduce_by_key_impl_wrapped_configILNS1_25lookback_scan_determinismE0ES3_S9_NS6_18transform_iteratorI25linear_index_to_row_indexIiENS6_17counting_iteratorIiNS6_11use_defaultESG_SG_EESG_SG_EENS6_6detail15normal_iteratorINS6_10device_ptrIiEEEESN_SN_PmS8_NS6_8equal_toIiEEEE10hipError_tPvRmT2_T3_mT4_T5_T6_T7_T8_P12ihipStream_tbENKUlT_T0_E_clISt17integral_constantIbLb1EES18_EEDaS13_S14_EUlS13_E_NS1_11comp_targetILNS1_3genE10ELNS1_11target_archE1200ELNS1_3gpuE4ELNS1_3repE0EEENS1_30default_config_static_selectorELNS0_4arch9wavefront6targetE0EEEvT1_,"axG",@progbits,_ZN7rocprim17ROCPRIM_400000_NS6detail17trampoline_kernelINS0_14default_configENS1_29reduce_by_key_config_selectorIiiN6thrust23THRUST_200600_302600_NS4plusIiEEEEZZNS1_33reduce_by_key_impl_wrapped_configILNS1_25lookback_scan_determinismE0ES3_S9_NS6_18transform_iteratorI25linear_index_to_row_indexIiENS6_17counting_iteratorIiNS6_11use_defaultESG_SG_EESG_SG_EENS6_6detail15normal_iteratorINS6_10device_ptrIiEEEESN_SN_PmS8_NS6_8equal_toIiEEEE10hipError_tPvRmT2_T3_mT4_T5_T6_T7_T8_P12ihipStream_tbENKUlT_T0_E_clISt17integral_constantIbLb1EES18_EEDaS13_S14_EUlS13_E_NS1_11comp_targetILNS1_3genE10ELNS1_11target_archE1200ELNS1_3gpuE4ELNS1_3repE0EEENS1_30default_config_static_selectorELNS0_4arch9wavefront6targetE0EEEvT1_,comdat
	.protected	_ZN7rocprim17ROCPRIM_400000_NS6detail17trampoline_kernelINS0_14default_configENS1_29reduce_by_key_config_selectorIiiN6thrust23THRUST_200600_302600_NS4plusIiEEEEZZNS1_33reduce_by_key_impl_wrapped_configILNS1_25lookback_scan_determinismE0ES3_S9_NS6_18transform_iteratorI25linear_index_to_row_indexIiENS6_17counting_iteratorIiNS6_11use_defaultESG_SG_EESG_SG_EENS6_6detail15normal_iteratorINS6_10device_ptrIiEEEESN_SN_PmS8_NS6_8equal_toIiEEEE10hipError_tPvRmT2_T3_mT4_T5_T6_T7_T8_P12ihipStream_tbENKUlT_T0_E_clISt17integral_constantIbLb1EES18_EEDaS13_S14_EUlS13_E_NS1_11comp_targetILNS1_3genE10ELNS1_11target_archE1200ELNS1_3gpuE4ELNS1_3repE0EEENS1_30default_config_static_selectorELNS0_4arch9wavefront6targetE0EEEvT1_ ; -- Begin function _ZN7rocprim17ROCPRIM_400000_NS6detail17trampoline_kernelINS0_14default_configENS1_29reduce_by_key_config_selectorIiiN6thrust23THRUST_200600_302600_NS4plusIiEEEEZZNS1_33reduce_by_key_impl_wrapped_configILNS1_25lookback_scan_determinismE0ES3_S9_NS6_18transform_iteratorI25linear_index_to_row_indexIiENS6_17counting_iteratorIiNS6_11use_defaultESG_SG_EESG_SG_EENS6_6detail15normal_iteratorINS6_10device_ptrIiEEEESN_SN_PmS8_NS6_8equal_toIiEEEE10hipError_tPvRmT2_T3_mT4_T5_T6_T7_T8_P12ihipStream_tbENKUlT_T0_E_clISt17integral_constantIbLb1EES18_EEDaS13_S14_EUlS13_E_NS1_11comp_targetILNS1_3genE10ELNS1_11target_archE1200ELNS1_3gpuE4ELNS1_3repE0EEENS1_30default_config_static_selectorELNS0_4arch9wavefront6targetE0EEEvT1_
	.globl	_ZN7rocprim17ROCPRIM_400000_NS6detail17trampoline_kernelINS0_14default_configENS1_29reduce_by_key_config_selectorIiiN6thrust23THRUST_200600_302600_NS4plusIiEEEEZZNS1_33reduce_by_key_impl_wrapped_configILNS1_25lookback_scan_determinismE0ES3_S9_NS6_18transform_iteratorI25linear_index_to_row_indexIiENS6_17counting_iteratorIiNS6_11use_defaultESG_SG_EESG_SG_EENS6_6detail15normal_iteratorINS6_10device_ptrIiEEEESN_SN_PmS8_NS6_8equal_toIiEEEE10hipError_tPvRmT2_T3_mT4_T5_T6_T7_T8_P12ihipStream_tbENKUlT_T0_E_clISt17integral_constantIbLb1EES18_EEDaS13_S14_EUlS13_E_NS1_11comp_targetILNS1_3genE10ELNS1_11target_archE1200ELNS1_3gpuE4ELNS1_3repE0EEENS1_30default_config_static_selectorELNS0_4arch9wavefront6targetE0EEEvT1_
	.p2align	8
	.type	_ZN7rocprim17ROCPRIM_400000_NS6detail17trampoline_kernelINS0_14default_configENS1_29reduce_by_key_config_selectorIiiN6thrust23THRUST_200600_302600_NS4plusIiEEEEZZNS1_33reduce_by_key_impl_wrapped_configILNS1_25lookback_scan_determinismE0ES3_S9_NS6_18transform_iteratorI25linear_index_to_row_indexIiENS6_17counting_iteratorIiNS6_11use_defaultESG_SG_EESG_SG_EENS6_6detail15normal_iteratorINS6_10device_ptrIiEEEESN_SN_PmS8_NS6_8equal_toIiEEEE10hipError_tPvRmT2_T3_mT4_T5_T6_T7_T8_P12ihipStream_tbENKUlT_T0_E_clISt17integral_constantIbLb1EES18_EEDaS13_S14_EUlS13_E_NS1_11comp_targetILNS1_3genE10ELNS1_11target_archE1200ELNS1_3gpuE4ELNS1_3repE0EEENS1_30default_config_static_selectorELNS0_4arch9wavefront6targetE0EEEvT1_,@function
_ZN7rocprim17ROCPRIM_400000_NS6detail17trampoline_kernelINS0_14default_configENS1_29reduce_by_key_config_selectorIiiN6thrust23THRUST_200600_302600_NS4plusIiEEEEZZNS1_33reduce_by_key_impl_wrapped_configILNS1_25lookback_scan_determinismE0ES3_S9_NS6_18transform_iteratorI25linear_index_to_row_indexIiENS6_17counting_iteratorIiNS6_11use_defaultESG_SG_EESG_SG_EENS6_6detail15normal_iteratorINS6_10device_ptrIiEEEESN_SN_PmS8_NS6_8equal_toIiEEEE10hipError_tPvRmT2_T3_mT4_T5_T6_T7_T8_P12ihipStream_tbENKUlT_T0_E_clISt17integral_constantIbLb1EES18_EEDaS13_S14_EUlS13_E_NS1_11comp_targetILNS1_3genE10ELNS1_11target_archE1200ELNS1_3gpuE4ELNS1_3repE0EEENS1_30default_config_static_selectorELNS0_4arch9wavefront6targetE0EEEvT1_: ; @_ZN7rocprim17ROCPRIM_400000_NS6detail17trampoline_kernelINS0_14default_configENS1_29reduce_by_key_config_selectorIiiN6thrust23THRUST_200600_302600_NS4plusIiEEEEZZNS1_33reduce_by_key_impl_wrapped_configILNS1_25lookback_scan_determinismE0ES3_S9_NS6_18transform_iteratorI25linear_index_to_row_indexIiENS6_17counting_iteratorIiNS6_11use_defaultESG_SG_EESG_SG_EENS6_6detail15normal_iteratorINS6_10device_ptrIiEEEESN_SN_PmS8_NS6_8equal_toIiEEEE10hipError_tPvRmT2_T3_mT4_T5_T6_T7_T8_P12ihipStream_tbENKUlT_T0_E_clISt17integral_constantIbLb1EES18_EEDaS13_S14_EUlS13_E_NS1_11comp_targetILNS1_3genE10ELNS1_11target_archE1200ELNS1_3gpuE4ELNS1_3repE0EEENS1_30default_config_static_selectorELNS0_4arch9wavefront6targetE0EEEvT1_
; %bb.0:
	.section	.rodata,"a",@progbits
	.p2align	6, 0x0
	.amdhsa_kernel _ZN7rocprim17ROCPRIM_400000_NS6detail17trampoline_kernelINS0_14default_configENS1_29reduce_by_key_config_selectorIiiN6thrust23THRUST_200600_302600_NS4plusIiEEEEZZNS1_33reduce_by_key_impl_wrapped_configILNS1_25lookback_scan_determinismE0ES3_S9_NS6_18transform_iteratorI25linear_index_to_row_indexIiENS6_17counting_iteratorIiNS6_11use_defaultESG_SG_EESG_SG_EENS6_6detail15normal_iteratorINS6_10device_ptrIiEEEESN_SN_PmS8_NS6_8equal_toIiEEEE10hipError_tPvRmT2_T3_mT4_T5_T6_T7_T8_P12ihipStream_tbENKUlT_T0_E_clISt17integral_constantIbLb1EES18_EEDaS13_S14_EUlS13_E_NS1_11comp_targetILNS1_3genE10ELNS1_11target_archE1200ELNS1_3gpuE4ELNS1_3repE0EEENS1_30default_config_static_selectorELNS0_4arch9wavefront6targetE0EEEvT1_
		.amdhsa_group_segment_fixed_size 0
		.amdhsa_private_segment_fixed_size 0
		.amdhsa_kernarg_size 120
		.amdhsa_user_sgpr_count 6
		.amdhsa_user_sgpr_private_segment_buffer 1
		.amdhsa_user_sgpr_dispatch_ptr 0
		.amdhsa_user_sgpr_queue_ptr 0
		.amdhsa_user_sgpr_kernarg_segment_ptr 1
		.amdhsa_user_sgpr_dispatch_id 0
		.amdhsa_user_sgpr_flat_scratch_init 0
		.amdhsa_user_sgpr_private_segment_size 0
		.amdhsa_wavefront_size32 1
		.amdhsa_uses_dynamic_stack 0
		.amdhsa_system_sgpr_private_segment_wavefront_offset 0
		.amdhsa_system_sgpr_workgroup_id_x 1
		.amdhsa_system_sgpr_workgroup_id_y 0
		.amdhsa_system_sgpr_workgroup_id_z 0
		.amdhsa_system_sgpr_workgroup_info 0
		.amdhsa_system_vgpr_workitem_id 0
		.amdhsa_next_free_vgpr 1
		.amdhsa_next_free_sgpr 1
		.amdhsa_reserve_vcc 0
		.amdhsa_reserve_flat_scratch 0
		.amdhsa_float_round_mode_32 0
		.amdhsa_float_round_mode_16_64 0
		.amdhsa_float_denorm_mode_32 3
		.amdhsa_float_denorm_mode_16_64 3
		.amdhsa_dx10_clamp 1
		.amdhsa_ieee_mode 1
		.amdhsa_fp16_overflow 0
		.amdhsa_workgroup_processor_mode 1
		.amdhsa_memory_ordered 1
		.amdhsa_forward_progress 1
		.amdhsa_shared_vgpr_count 0
		.amdhsa_exception_fp_ieee_invalid_op 0
		.amdhsa_exception_fp_denorm_src 0
		.amdhsa_exception_fp_ieee_div_zero 0
		.amdhsa_exception_fp_ieee_overflow 0
		.amdhsa_exception_fp_ieee_underflow 0
		.amdhsa_exception_fp_ieee_inexact 0
		.amdhsa_exception_int_div_zero 0
	.end_amdhsa_kernel
	.section	.text._ZN7rocprim17ROCPRIM_400000_NS6detail17trampoline_kernelINS0_14default_configENS1_29reduce_by_key_config_selectorIiiN6thrust23THRUST_200600_302600_NS4plusIiEEEEZZNS1_33reduce_by_key_impl_wrapped_configILNS1_25lookback_scan_determinismE0ES3_S9_NS6_18transform_iteratorI25linear_index_to_row_indexIiENS6_17counting_iteratorIiNS6_11use_defaultESG_SG_EESG_SG_EENS6_6detail15normal_iteratorINS6_10device_ptrIiEEEESN_SN_PmS8_NS6_8equal_toIiEEEE10hipError_tPvRmT2_T3_mT4_T5_T6_T7_T8_P12ihipStream_tbENKUlT_T0_E_clISt17integral_constantIbLb1EES18_EEDaS13_S14_EUlS13_E_NS1_11comp_targetILNS1_3genE10ELNS1_11target_archE1200ELNS1_3gpuE4ELNS1_3repE0EEENS1_30default_config_static_selectorELNS0_4arch9wavefront6targetE0EEEvT1_,"axG",@progbits,_ZN7rocprim17ROCPRIM_400000_NS6detail17trampoline_kernelINS0_14default_configENS1_29reduce_by_key_config_selectorIiiN6thrust23THRUST_200600_302600_NS4plusIiEEEEZZNS1_33reduce_by_key_impl_wrapped_configILNS1_25lookback_scan_determinismE0ES3_S9_NS6_18transform_iteratorI25linear_index_to_row_indexIiENS6_17counting_iteratorIiNS6_11use_defaultESG_SG_EESG_SG_EENS6_6detail15normal_iteratorINS6_10device_ptrIiEEEESN_SN_PmS8_NS6_8equal_toIiEEEE10hipError_tPvRmT2_T3_mT4_T5_T6_T7_T8_P12ihipStream_tbENKUlT_T0_E_clISt17integral_constantIbLb1EES18_EEDaS13_S14_EUlS13_E_NS1_11comp_targetILNS1_3genE10ELNS1_11target_archE1200ELNS1_3gpuE4ELNS1_3repE0EEENS1_30default_config_static_selectorELNS0_4arch9wavefront6targetE0EEEvT1_,comdat
.Lfunc_end27:
	.size	_ZN7rocprim17ROCPRIM_400000_NS6detail17trampoline_kernelINS0_14default_configENS1_29reduce_by_key_config_selectorIiiN6thrust23THRUST_200600_302600_NS4plusIiEEEEZZNS1_33reduce_by_key_impl_wrapped_configILNS1_25lookback_scan_determinismE0ES3_S9_NS6_18transform_iteratorI25linear_index_to_row_indexIiENS6_17counting_iteratorIiNS6_11use_defaultESG_SG_EESG_SG_EENS6_6detail15normal_iteratorINS6_10device_ptrIiEEEESN_SN_PmS8_NS6_8equal_toIiEEEE10hipError_tPvRmT2_T3_mT4_T5_T6_T7_T8_P12ihipStream_tbENKUlT_T0_E_clISt17integral_constantIbLb1EES18_EEDaS13_S14_EUlS13_E_NS1_11comp_targetILNS1_3genE10ELNS1_11target_archE1200ELNS1_3gpuE4ELNS1_3repE0EEENS1_30default_config_static_selectorELNS0_4arch9wavefront6targetE0EEEvT1_, .Lfunc_end27-_ZN7rocprim17ROCPRIM_400000_NS6detail17trampoline_kernelINS0_14default_configENS1_29reduce_by_key_config_selectorIiiN6thrust23THRUST_200600_302600_NS4plusIiEEEEZZNS1_33reduce_by_key_impl_wrapped_configILNS1_25lookback_scan_determinismE0ES3_S9_NS6_18transform_iteratorI25linear_index_to_row_indexIiENS6_17counting_iteratorIiNS6_11use_defaultESG_SG_EESG_SG_EENS6_6detail15normal_iteratorINS6_10device_ptrIiEEEESN_SN_PmS8_NS6_8equal_toIiEEEE10hipError_tPvRmT2_T3_mT4_T5_T6_T7_T8_P12ihipStream_tbENKUlT_T0_E_clISt17integral_constantIbLb1EES18_EEDaS13_S14_EUlS13_E_NS1_11comp_targetILNS1_3genE10ELNS1_11target_archE1200ELNS1_3gpuE4ELNS1_3repE0EEENS1_30default_config_static_selectorELNS0_4arch9wavefront6targetE0EEEvT1_
                                        ; -- End function
	.set _ZN7rocprim17ROCPRIM_400000_NS6detail17trampoline_kernelINS0_14default_configENS1_29reduce_by_key_config_selectorIiiN6thrust23THRUST_200600_302600_NS4plusIiEEEEZZNS1_33reduce_by_key_impl_wrapped_configILNS1_25lookback_scan_determinismE0ES3_S9_NS6_18transform_iteratorI25linear_index_to_row_indexIiENS6_17counting_iteratorIiNS6_11use_defaultESG_SG_EESG_SG_EENS6_6detail15normal_iteratorINS6_10device_ptrIiEEEESN_SN_PmS8_NS6_8equal_toIiEEEE10hipError_tPvRmT2_T3_mT4_T5_T6_T7_T8_P12ihipStream_tbENKUlT_T0_E_clISt17integral_constantIbLb1EES18_EEDaS13_S14_EUlS13_E_NS1_11comp_targetILNS1_3genE10ELNS1_11target_archE1200ELNS1_3gpuE4ELNS1_3repE0EEENS1_30default_config_static_selectorELNS0_4arch9wavefront6targetE0EEEvT1_.num_vgpr, 0
	.set _ZN7rocprim17ROCPRIM_400000_NS6detail17trampoline_kernelINS0_14default_configENS1_29reduce_by_key_config_selectorIiiN6thrust23THRUST_200600_302600_NS4plusIiEEEEZZNS1_33reduce_by_key_impl_wrapped_configILNS1_25lookback_scan_determinismE0ES3_S9_NS6_18transform_iteratorI25linear_index_to_row_indexIiENS6_17counting_iteratorIiNS6_11use_defaultESG_SG_EESG_SG_EENS6_6detail15normal_iteratorINS6_10device_ptrIiEEEESN_SN_PmS8_NS6_8equal_toIiEEEE10hipError_tPvRmT2_T3_mT4_T5_T6_T7_T8_P12ihipStream_tbENKUlT_T0_E_clISt17integral_constantIbLb1EES18_EEDaS13_S14_EUlS13_E_NS1_11comp_targetILNS1_3genE10ELNS1_11target_archE1200ELNS1_3gpuE4ELNS1_3repE0EEENS1_30default_config_static_selectorELNS0_4arch9wavefront6targetE0EEEvT1_.num_agpr, 0
	.set _ZN7rocprim17ROCPRIM_400000_NS6detail17trampoline_kernelINS0_14default_configENS1_29reduce_by_key_config_selectorIiiN6thrust23THRUST_200600_302600_NS4plusIiEEEEZZNS1_33reduce_by_key_impl_wrapped_configILNS1_25lookback_scan_determinismE0ES3_S9_NS6_18transform_iteratorI25linear_index_to_row_indexIiENS6_17counting_iteratorIiNS6_11use_defaultESG_SG_EESG_SG_EENS6_6detail15normal_iteratorINS6_10device_ptrIiEEEESN_SN_PmS8_NS6_8equal_toIiEEEE10hipError_tPvRmT2_T3_mT4_T5_T6_T7_T8_P12ihipStream_tbENKUlT_T0_E_clISt17integral_constantIbLb1EES18_EEDaS13_S14_EUlS13_E_NS1_11comp_targetILNS1_3genE10ELNS1_11target_archE1200ELNS1_3gpuE4ELNS1_3repE0EEENS1_30default_config_static_selectorELNS0_4arch9wavefront6targetE0EEEvT1_.numbered_sgpr, 0
	.set _ZN7rocprim17ROCPRIM_400000_NS6detail17trampoline_kernelINS0_14default_configENS1_29reduce_by_key_config_selectorIiiN6thrust23THRUST_200600_302600_NS4plusIiEEEEZZNS1_33reduce_by_key_impl_wrapped_configILNS1_25lookback_scan_determinismE0ES3_S9_NS6_18transform_iteratorI25linear_index_to_row_indexIiENS6_17counting_iteratorIiNS6_11use_defaultESG_SG_EESG_SG_EENS6_6detail15normal_iteratorINS6_10device_ptrIiEEEESN_SN_PmS8_NS6_8equal_toIiEEEE10hipError_tPvRmT2_T3_mT4_T5_T6_T7_T8_P12ihipStream_tbENKUlT_T0_E_clISt17integral_constantIbLb1EES18_EEDaS13_S14_EUlS13_E_NS1_11comp_targetILNS1_3genE10ELNS1_11target_archE1200ELNS1_3gpuE4ELNS1_3repE0EEENS1_30default_config_static_selectorELNS0_4arch9wavefront6targetE0EEEvT1_.num_named_barrier, 0
	.set _ZN7rocprim17ROCPRIM_400000_NS6detail17trampoline_kernelINS0_14default_configENS1_29reduce_by_key_config_selectorIiiN6thrust23THRUST_200600_302600_NS4plusIiEEEEZZNS1_33reduce_by_key_impl_wrapped_configILNS1_25lookback_scan_determinismE0ES3_S9_NS6_18transform_iteratorI25linear_index_to_row_indexIiENS6_17counting_iteratorIiNS6_11use_defaultESG_SG_EESG_SG_EENS6_6detail15normal_iteratorINS6_10device_ptrIiEEEESN_SN_PmS8_NS6_8equal_toIiEEEE10hipError_tPvRmT2_T3_mT4_T5_T6_T7_T8_P12ihipStream_tbENKUlT_T0_E_clISt17integral_constantIbLb1EES18_EEDaS13_S14_EUlS13_E_NS1_11comp_targetILNS1_3genE10ELNS1_11target_archE1200ELNS1_3gpuE4ELNS1_3repE0EEENS1_30default_config_static_selectorELNS0_4arch9wavefront6targetE0EEEvT1_.private_seg_size, 0
	.set _ZN7rocprim17ROCPRIM_400000_NS6detail17trampoline_kernelINS0_14default_configENS1_29reduce_by_key_config_selectorIiiN6thrust23THRUST_200600_302600_NS4plusIiEEEEZZNS1_33reduce_by_key_impl_wrapped_configILNS1_25lookback_scan_determinismE0ES3_S9_NS6_18transform_iteratorI25linear_index_to_row_indexIiENS6_17counting_iteratorIiNS6_11use_defaultESG_SG_EESG_SG_EENS6_6detail15normal_iteratorINS6_10device_ptrIiEEEESN_SN_PmS8_NS6_8equal_toIiEEEE10hipError_tPvRmT2_T3_mT4_T5_T6_T7_T8_P12ihipStream_tbENKUlT_T0_E_clISt17integral_constantIbLb1EES18_EEDaS13_S14_EUlS13_E_NS1_11comp_targetILNS1_3genE10ELNS1_11target_archE1200ELNS1_3gpuE4ELNS1_3repE0EEENS1_30default_config_static_selectorELNS0_4arch9wavefront6targetE0EEEvT1_.uses_vcc, 0
	.set _ZN7rocprim17ROCPRIM_400000_NS6detail17trampoline_kernelINS0_14default_configENS1_29reduce_by_key_config_selectorIiiN6thrust23THRUST_200600_302600_NS4plusIiEEEEZZNS1_33reduce_by_key_impl_wrapped_configILNS1_25lookback_scan_determinismE0ES3_S9_NS6_18transform_iteratorI25linear_index_to_row_indexIiENS6_17counting_iteratorIiNS6_11use_defaultESG_SG_EESG_SG_EENS6_6detail15normal_iteratorINS6_10device_ptrIiEEEESN_SN_PmS8_NS6_8equal_toIiEEEE10hipError_tPvRmT2_T3_mT4_T5_T6_T7_T8_P12ihipStream_tbENKUlT_T0_E_clISt17integral_constantIbLb1EES18_EEDaS13_S14_EUlS13_E_NS1_11comp_targetILNS1_3genE10ELNS1_11target_archE1200ELNS1_3gpuE4ELNS1_3repE0EEENS1_30default_config_static_selectorELNS0_4arch9wavefront6targetE0EEEvT1_.uses_flat_scratch, 0
	.set _ZN7rocprim17ROCPRIM_400000_NS6detail17trampoline_kernelINS0_14default_configENS1_29reduce_by_key_config_selectorIiiN6thrust23THRUST_200600_302600_NS4plusIiEEEEZZNS1_33reduce_by_key_impl_wrapped_configILNS1_25lookback_scan_determinismE0ES3_S9_NS6_18transform_iteratorI25linear_index_to_row_indexIiENS6_17counting_iteratorIiNS6_11use_defaultESG_SG_EESG_SG_EENS6_6detail15normal_iteratorINS6_10device_ptrIiEEEESN_SN_PmS8_NS6_8equal_toIiEEEE10hipError_tPvRmT2_T3_mT4_T5_T6_T7_T8_P12ihipStream_tbENKUlT_T0_E_clISt17integral_constantIbLb1EES18_EEDaS13_S14_EUlS13_E_NS1_11comp_targetILNS1_3genE10ELNS1_11target_archE1200ELNS1_3gpuE4ELNS1_3repE0EEENS1_30default_config_static_selectorELNS0_4arch9wavefront6targetE0EEEvT1_.has_dyn_sized_stack, 0
	.set _ZN7rocprim17ROCPRIM_400000_NS6detail17trampoline_kernelINS0_14default_configENS1_29reduce_by_key_config_selectorIiiN6thrust23THRUST_200600_302600_NS4plusIiEEEEZZNS1_33reduce_by_key_impl_wrapped_configILNS1_25lookback_scan_determinismE0ES3_S9_NS6_18transform_iteratorI25linear_index_to_row_indexIiENS6_17counting_iteratorIiNS6_11use_defaultESG_SG_EESG_SG_EENS6_6detail15normal_iteratorINS6_10device_ptrIiEEEESN_SN_PmS8_NS6_8equal_toIiEEEE10hipError_tPvRmT2_T3_mT4_T5_T6_T7_T8_P12ihipStream_tbENKUlT_T0_E_clISt17integral_constantIbLb1EES18_EEDaS13_S14_EUlS13_E_NS1_11comp_targetILNS1_3genE10ELNS1_11target_archE1200ELNS1_3gpuE4ELNS1_3repE0EEENS1_30default_config_static_selectorELNS0_4arch9wavefront6targetE0EEEvT1_.has_recursion, 0
	.set _ZN7rocprim17ROCPRIM_400000_NS6detail17trampoline_kernelINS0_14default_configENS1_29reduce_by_key_config_selectorIiiN6thrust23THRUST_200600_302600_NS4plusIiEEEEZZNS1_33reduce_by_key_impl_wrapped_configILNS1_25lookback_scan_determinismE0ES3_S9_NS6_18transform_iteratorI25linear_index_to_row_indexIiENS6_17counting_iteratorIiNS6_11use_defaultESG_SG_EESG_SG_EENS6_6detail15normal_iteratorINS6_10device_ptrIiEEEESN_SN_PmS8_NS6_8equal_toIiEEEE10hipError_tPvRmT2_T3_mT4_T5_T6_T7_T8_P12ihipStream_tbENKUlT_T0_E_clISt17integral_constantIbLb1EES18_EEDaS13_S14_EUlS13_E_NS1_11comp_targetILNS1_3genE10ELNS1_11target_archE1200ELNS1_3gpuE4ELNS1_3repE0EEENS1_30default_config_static_selectorELNS0_4arch9wavefront6targetE0EEEvT1_.has_indirect_call, 0
	.section	.AMDGPU.csdata,"",@progbits
; Kernel info:
; codeLenInByte = 0
; TotalNumSgprs: 0
; NumVgprs: 0
; ScratchSize: 0
; MemoryBound: 0
; FloatMode: 240
; IeeeMode: 1
; LDSByteSize: 0 bytes/workgroup (compile time only)
; SGPRBlocks: 0
; VGPRBlocks: 0
; NumSGPRsForWavesPerEU: 1
; NumVGPRsForWavesPerEU: 1
; Occupancy: 16
; WaveLimiterHint : 0
; COMPUTE_PGM_RSRC2:SCRATCH_EN: 0
; COMPUTE_PGM_RSRC2:USER_SGPR: 6
; COMPUTE_PGM_RSRC2:TRAP_HANDLER: 0
; COMPUTE_PGM_RSRC2:TGID_X_EN: 1
; COMPUTE_PGM_RSRC2:TGID_Y_EN: 0
; COMPUTE_PGM_RSRC2:TGID_Z_EN: 0
; COMPUTE_PGM_RSRC2:TIDIG_COMP_CNT: 0
	.section	.text._ZN7rocprim17ROCPRIM_400000_NS6detail17trampoline_kernelINS0_14default_configENS1_29reduce_by_key_config_selectorIiiN6thrust23THRUST_200600_302600_NS4plusIiEEEEZZNS1_33reduce_by_key_impl_wrapped_configILNS1_25lookback_scan_determinismE0ES3_S9_NS6_18transform_iteratorI25linear_index_to_row_indexIiENS6_17counting_iteratorIiNS6_11use_defaultESG_SG_EESG_SG_EENS6_6detail15normal_iteratorINS6_10device_ptrIiEEEESN_SN_PmS8_NS6_8equal_toIiEEEE10hipError_tPvRmT2_T3_mT4_T5_T6_T7_T8_P12ihipStream_tbENKUlT_T0_E_clISt17integral_constantIbLb1EES18_EEDaS13_S14_EUlS13_E_NS1_11comp_targetILNS1_3genE9ELNS1_11target_archE1100ELNS1_3gpuE3ELNS1_3repE0EEENS1_30default_config_static_selectorELNS0_4arch9wavefront6targetE0EEEvT1_,"axG",@progbits,_ZN7rocprim17ROCPRIM_400000_NS6detail17trampoline_kernelINS0_14default_configENS1_29reduce_by_key_config_selectorIiiN6thrust23THRUST_200600_302600_NS4plusIiEEEEZZNS1_33reduce_by_key_impl_wrapped_configILNS1_25lookback_scan_determinismE0ES3_S9_NS6_18transform_iteratorI25linear_index_to_row_indexIiENS6_17counting_iteratorIiNS6_11use_defaultESG_SG_EESG_SG_EENS6_6detail15normal_iteratorINS6_10device_ptrIiEEEESN_SN_PmS8_NS6_8equal_toIiEEEE10hipError_tPvRmT2_T3_mT4_T5_T6_T7_T8_P12ihipStream_tbENKUlT_T0_E_clISt17integral_constantIbLb1EES18_EEDaS13_S14_EUlS13_E_NS1_11comp_targetILNS1_3genE9ELNS1_11target_archE1100ELNS1_3gpuE3ELNS1_3repE0EEENS1_30default_config_static_selectorELNS0_4arch9wavefront6targetE0EEEvT1_,comdat
	.protected	_ZN7rocprim17ROCPRIM_400000_NS6detail17trampoline_kernelINS0_14default_configENS1_29reduce_by_key_config_selectorIiiN6thrust23THRUST_200600_302600_NS4plusIiEEEEZZNS1_33reduce_by_key_impl_wrapped_configILNS1_25lookback_scan_determinismE0ES3_S9_NS6_18transform_iteratorI25linear_index_to_row_indexIiENS6_17counting_iteratorIiNS6_11use_defaultESG_SG_EESG_SG_EENS6_6detail15normal_iteratorINS6_10device_ptrIiEEEESN_SN_PmS8_NS6_8equal_toIiEEEE10hipError_tPvRmT2_T3_mT4_T5_T6_T7_T8_P12ihipStream_tbENKUlT_T0_E_clISt17integral_constantIbLb1EES18_EEDaS13_S14_EUlS13_E_NS1_11comp_targetILNS1_3genE9ELNS1_11target_archE1100ELNS1_3gpuE3ELNS1_3repE0EEENS1_30default_config_static_selectorELNS0_4arch9wavefront6targetE0EEEvT1_ ; -- Begin function _ZN7rocprim17ROCPRIM_400000_NS6detail17trampoline_kernelINS0_14default_configENS1_29reduce_by_key_config_selectorIiiN6thrust23THRUST_200600_302600_NS4plusIiEEEEZZNS1_33reduce_by_key_impl_wrapped_configILNS1_25lookback_scan_determinismE0ES3_S9_NS6_18transform_iteratorI25linear_index_to_row_indexIiENS6_17counting_iteratorIiNS6_11use_defaultESG_SG_EESG_SG_EENS6_6detail15normal_iteratorINS6_10device_ptrIiEEEESN_SN_PmS8_NS6_8equal_toIiEEEE10hipError_tPvRmT2_T3_mT4_T5_T6_T7_T8_P12ihipStream_tbENKUlT_T0_E_clISt17integral_constantIbLb1EES18_EEDaS13_S14_EUlS13_E_NS1_11comp_targetILNS1_3genE9ELNS1_11target_archE1100ELNS1_3gpuE3ELNS1_3repE0EEENS1_30default_config_static_selectorELNS0_4arch9wavefront6targetE0EEEvT1_
	.globl	_ZN7rocprim17ROCPRIM_400000_NS6detail17trampoline_kernelINS0_14default_configENS1_29reduce_by_key_config_selectorIiiN6thrust23THRUST_200600_302600_NS4plusIiEEEEZZNS1_33reduce_by_key_impl_wrapped_configILNS1_25lookback_scan_determinismE0ES3_S9_NS6_18transform_iteratorI25linear_index_to_row_indexIiENS6_17counting_iteratorIiNS6_11use_defaultESG_SG_EESG_SG_EENS6_6detail15normal_iteratorINS6_10device_ptrIiEEEESN_SN_PmS8_NS6_8equal_toIiEEEE10hipError_tPvRmT2_T3_mT4_T5_T6_T7_T8_P12ihipStream_tbENKUlT_T0_E_clISt17integral_constantIbLb1EES18_EEDaS13_S14_EUlS13_E_NS1_11comp_targetILNS1_3genE9ELNS1_11target_archE1100ELNS1_3gpuE3ELNS1_3repE0EEENS1_30default_config_static_selectorELNS0_4arch9wavefront6targetE0EEEvT1_
	.p2align	8
	.type	_ZN7rocprim17ROCPRIM_400000_NS6detail17trampoline_kernelINS0_14default_configENS1_29reduce_by_key_config_selectorIiiN6thrust23THRUST_200600_302600_NS4plusIiEEEEZZNS1_33reduce_by_key_impl_wrapped_configILNS1_25lookback_scan_determinismE0ES3_S9_NS6_18transform_iteratorI25linear_index_to_row_indexIiENS6_17counting_iteratorIiNS6_11use_defaultESG_SG_EESG_SG_EENS6_6detail15normal_iteratorINS6_10device_ptrIiEEEESN_SN_PmS8_NS6_8equal_toIiEEEE10hipError_tPvRmT2_T3_mT4_T5_T6_T7_T8_P12ihipStream_tbENKUlT_T0_E_clISt17integral_constantIbLb1EES18_EEDaS13_S14_EUlS13_E_NS1_11comp_targetILNS1_3genE9ELNS1_11target_archE1100ELNS1_3gpuE3ELNS1_3repE0EEENS1_30default_config_static_selectorELNS0_4arch9wavefront6targetE0EEEvT1_,@function
_ZN7rocprim17ROCPRIM_400000_NS6detail17trampoline_kernelINS0_14default_configENS1_29reduce_by_key_config_selectorIiiN6thrust23THRUST_200600_302600_NS4plusIiEEEEZZNS1_33reduce_by_key_impl_wrapped_configILNS1_25lookback_scan_determinismE0ES3_S9_NS6_18transform_iteratorI25linear_index_to_row_indexIiENS6_17counting_iteratorIiNS6_11use_defaultESG_SG_EESG_SG_EENS6_6detail15normal_iteratorINS6_10device_ptrIiEEEESN_SN_PmS8_NS6_8equal_toIiEEEE10hipError_tPvRmT2_T3_mT4_T5_T6_T7_T8_P12ihipStream_tbENKUlT_T0_E_clISt17integral_constantIbLb1EES18_EEDaS13_S14_EUlS13_E_NS1_11comp_targetILNS1_3genE9ELNS1_11target_archE1100ELNS1_3gpuE3ELNS1_3repE0EEENS1_30default_config_static_selectorELNS0_4arch9wavefront6targetE0EEEvT1_: ; @_ZN7rocprim17ROCPRIM_400000_NS6detail17trampoline_kernelINS0_14default_configENS1_29reduce_by_key_config_selectorIiiN6thrust23THRUST_200600_302600_NS4plusIiEEEEZZNS1_33reduce_by_key_impl_wrapped_configILNS1_25lookback_scan_determinismE0ES3_S9_NS6_18transform_iteratorI25linear_index_to_row_indexIiENS6_17counting_iteratorIiNS6_11use_defaultESG_SG_EESG_SG_EENS6_6detail15normal_iteratorINS6_10device_ptrIiEEEESN_SN_PmS8_NS6_8equal_toIiEEEE10hipError_tPvRmT2_T3_mT4_T5_T6_T7_T8_P12ihipStream_tbENKUlT_T0_E_clISt17integral_constantIbLb1EES18_EEDaS13_S14_EUlS13_E_NS1_11comp_targetILNS1_3genE9ELNS1_11target_archE1100ELNS1_3gpuE3ELNS1_3repE0EEENS1_30default_config_static_selectorELNS0_4arch9wavefront6targetE0EEEvT1_
; %bb.0:
	.section	.rodata,"a",@progbits
	.p2align	6, 0x0
	.amdhsa_kernel _ZN7rocprim17ROCPRIM_400000_NS6detail17trampoline_kernelINS0_14default_configENS1_29reduce_by_key_config_selectorIiiN6thrust23THRUST_200600_302600_NS4plusIiEEEEZZNS1_33reduce_by_key_impl_wrapped_configILNS1_25lookback_scan_determinismE0ES3_S9_NS6_18transform_iteratorI25linear_index_to_row_indexIiENS6_17counting_iteratorIiNS6_11use_defaultESG_SG_EESG_SG_EENS6_6detail15normal_iteratorINS6_10device_ptrIiEEEESN_SN_PmS8_NS6_8equal_toIiEEEE10hipError_tPvRmT2_T3_mT4_T5_T6_T7_T8_P12ihipStream_tbENKUlT_T0_E_clISt17integral_constantIbLb1EES18_EEDaS13_S14_EUlS13_E_NS1_11comp_targetILNS1_3genE9ELNS1_11target_archE1100ELNS1_3gpuE3ELNS1_3repE0EEENS1_30default_config_static_selectorELNS0_4arch9wavefront6targetE0EEEvT1_
		.amdhsa_group_segment_fixed_size 0
		.amdhsa_private_segment_fixed_size 0
		.amdhsa_kernarg_size 120
		.amdhsa_user_sgpr_count 6
		.amdhsa_user_sgpr_private_segment_buffer 1
		.amdhsa_user_sgpr_dispatch_ptr 0
		.amdhsa_user_sgpr_queue_ptr 0
		.amdhsa_user_sgpr_kernarg_segment_ptr 1
		.amdhsa_user_sgpr_dispatch_id 0
		.amdhsa_user_sgpr_flat_scratch_init 0
		.amdhsa_user_sgpr_private_segment_size 0
		.amdhsa_wavefront_size32 1
		.amdhsa_uses_dynamic_stack 0
		.amdhsa_system_sgpr_private_segment_wavefront_offset 0
		.amdhsa_system_sgpr_workgroup_id_x 1
		.amdhsa_system_sgpr_workgroup_id_y 0
		.amdhsa_system_sgpr_workgroup_id_z 0
		.amdhsa_system_sgpr_workgroup_info 0
		.amdhsa_system_vgpr_workitem_id 0
		.amdhsa_next_free_vgpr 1
		.amdhsa_next_free_sgpr 1
		.amdhsa_reserve_vcc 0
		.amdhsa_reserve_flat_scratch 0
		.amdhsa_float_round_mode_32 0
		.amdhsa_float_round_mode_16_64 0
		.amdhsa_float_denorm_mode_32 3
		.amdhsa_float_denorm_mode_16_64 3
		.amdhsa_dx10_clamp 1
		.amdhsa_ieee_mode 1
		.amdhsa_fp16_overflow 0
		.amdhsa_workgroup_processor_mode 1
		.amdhsa_memory_ordered 1
		.amdhsa_forward_progress 1
		.amdhsa_shared_vgpr_count 0
		.amdhsa_exception_fp_ieee_invalid_op 0
		.amdhsa_exception_fp_denorm_src 0
		.amdhsa_exception_fp_ieee_div_zero 0
		.amdhsa_exception_fp_ieee_overflow 0
		.amdhsa_exception_fp_ieee_underflow 0
		.amdhsa_exception_fp_ieee_inexact 0
		.amdhsa_exception_int_div_zero 0
	.end_amdhsa_kernel
	.section	.text._ZN7rocprim17ROCPRIM_400000_NS6detail17trampoline_kernelINS0_14default_configENS1_29reduce_by_key_config_selectorIiiN6thrust23THRUST_200600_302600_NS4plusIiEEEEZZNS1_33reduce_by_key_impl_wrapped_configILNS1_25lookback_scan_determinismE0ES3_S9_NS6_18transform_iteratorI25linear_index_to_row_indexIiENS6_17counting_iteratorIiNS6_11use_defaultESG_SG_EESG_SG_EENS6_6detail15normal_iteratorINS6_10device_ptrIiEEEESN_SN_PmS8_NS6_8equal_toIiEEEE10hipError_tPvRmT2_T3_mT4_T5_T6_T7_T8_P12ihipStream_tbENKUlT_T0_E_clISt17integral_constantIbLb1EES18_EEDaS13_S14_EUlS13_E_NS1_11comp_targetILNS1_3genE9ELNS1_11target_archE1100ELNS1_3gpuE3ELNS1_3repE0EEENS1_30default_config_static_selectorELNS0_4arch9wavefront6targetE0EEEvT1_,"axG",@progbits,_ZN7rocprim17ROCPRIM_400000_NS6detail17trampoline_kernelINS0_14default_configENS1_29reduce_by_key_config_selectorIiiN6thrust23THRUST_200600_302600_NS4plusIiEEEEZZNS1_33reduce_by_key_impl_wrapped_configILNS1_25lookback_scan_determinismE0ES3_S9_NS6_18transform_iteratorI25linear_index_to_row_indexIiENS6_17counting_iteratorIiNS6_11use_defaultESG_SG_EESG_SG_EENS6_6detail15normal_iteratorINS6_10device_ptrIiEEEESN_SN_PmS8_NS6_8equal_toIiEEEE10hipError_tPvRmT2_T3_mT4_T5_T6_T7_T8_P12ihipStream_tbENKUlT_T0_E_clISt17integral_constantIbLb1EES18_EEDaS13_S14_EUlS13_E_NS1_11comp_targetILNS1_3genE9ELNS1_11target_archE1100ELNS1_3gpuE3ELNS1_3repE0EEENS1_30default_config_static_selectorELNS0_4arch9wavefront6targetE0EEEvT1_,comdat
.Lfunc_end28:
	.size	_ZN7rocprim17ROCPRIM_400000_NS6detail17trampoline_kernelINS0_14default_configENS1_29reduce_by_key_config_selectorIiiN6thrust23THRUST_200600_302600_NS4plusIiEEEEZZNS1_33reduce_by_key_impl_wrapped_configILNS1_25lookback_scan_determinismE0ES3_S9_NS6_18transform_iteratorI25linear_index_to_row_indexIiENS6_17counting_iteratorIiNS6_11use_defaultESG_SG_EESG_SG_EENS6_6detail15normal_iteratorINS6_10device_ptrIiEEEESN_SN_PmS8_NS6_8equal_toIiEEEE10hipError_tPvRmT2_T3_mT4_T5_T6_T7_T8_P12ihipStream_tbENKUlT_T0_E_clISt17integral_constantIbLb1EES18_EEDaS13_S14_EUlS13_E_NS1_11comp_targetILNS1_3genE9ELNS1_11target_archE1100ELNS1_3gpuE3ELNS1_3repE0EEENS1_30default_config_static_selectorELNS0_4arch9wavefront6targetE0EEEvT1_, .Lfunc_end28-_ZN7rocprim17ROCPRIM_400000_NS6detail17trampoline_kernelINS0_14default_configENS1_29reduce_by_key_config_selectorIiiN6thrust23THRUST_200600_302600_NS4plusIiEEEEZZNS1_33reduce_by_key_impl_wrapped_configILNS1_25lookback_scan_determinismE0ES3_S9_NS6_18transform_iteratorI25linear_index_to_row_indexIiENS6_17counting_iteratorIiNS6_11use_defaultESG_SG_EESG_SG_EENS6_6detail15normal_iteratorINS6_10device_ptrIiEEEESN_SN_PmS8_NS6_8equal_toIiEEEE10hipError_tPvRmT2_T3_mT4_T5_T6_T7_T8_P12ihipStream_tbENKUlT_T0_E_clISt17integral_constantIbLb1EES18_EEDaS13_S14_EUlS13_E_NS1_11comp_targetILNS1_3genE9ELNS1_11target_archE1100ELNS1_3gpuE3ELNS1_3repE0EEENS1_30default_config_static_selectorELNS0_4arch9wavefront6targetE0EEEvT1_
                                        ; -- End function
	.set _ZN7rocprim17ROCPRIM_400000_NS6detail17trampoline_kernelINS0_14default_configENS1_29reduce_by_key_config_selectorIiiN6thrust23THRUST_200600_302600_NS4plusIiEEEEZZNS1_33reduce_by_key_impl_wrapped_configILNS1_25lookback_scan_determinismE0ES3_S9_NS6_18transform_iteratorI25linear_index_to_row_indexIiENS6_17counting_iteratorIiNS6_11use_defaultESG_SG_EESG_SG_EENS6_6detail15normal_iteratorINS6_10device_ptrIiEEEESN_SN_PmS8_NS6_8equal_toIiEEEE10hipError_tPvRmT2_T3_mT4_T5_T6_T7_T8_P12ihipStream_tbENKUlT_T0_E_clISt17integral_constantIbLb1EES18_EEDaS13_S14_EUlS13_E_NS1_11comp_targetILNS1_3genE9ELNS1_11target_archE1100ELNS1_3gpuE3ELNS1_3repE0EEENS1_30default_config_static_selectorELNS0_4arch9wavefront6targetE0EEEvT1_.num_vgpr, 0
	.set _ZN7rocprim17ROCPRIM_400000_NS6detail17trampoline_kernelINS0_14default_configENS1_29reduce_by_key_config_selectorIiiN6thrust23THRUST_200600_302600_NS4plusIiEEEEZZNS1_33reduce_by_key_impl_wrapped_configILNS1_25lookback_scan_determinismE0ES3_S9_NS6_18transform_iteratorI25linear_index_to_row_indexIiENS6_17counting_iteratorIiNS6_11use_defaultESG_SG_EESG_SG_EENS6_6detail15normal_iteratorINS6_10device_ptrIiEEEESN_SN_PmS8_NS6_8equal_toIiEEEE10hipError_tPvRmT2_T3_mT4_T5_T6_T7_T8_P12ihipStream_tbENKUlT_T0_E_clISt17integral_constantIbLb1EES18_EEDaS13_S14_EUlS13_E_NS1_11comp_targetILNS1_3genE9ELNS1_11target_archE1100ELNS1_3gpuE3ELNS1_3repE0EEENS1_30default_config_static_selectorELNS0_4arch9wavefront6targetE0EEEvT1_.num_agpr, 0
	.set _ZN7rocprim17ROCPRIM_400000_NS6detail17trampoline_kernelINS0_14default_configENS1_29reduce_by_key_config_selectorIiiN6thrust23THRUST_200600_302600_NS4plusIiEEEEZZNS1_33reduce_by_key_impl_wrapped_configILNS1_25lookback_scan_determinismE0ES3_S9_NS6_18transform_iteratorI25linear_index_to_row_indexIiENS6_17counting_iteratorIiNS6_11use_defaultESG_SG_EESG_SG_EENS6_6detail15normal_iteratorINS6_10device_ptrIiEEEESN_SN_PmS8_NS6_8equal_toIiEEEE10hipError_tPvRmT2_T3_mT4_T5_T6_T7_T8_P12ihipStream_tbENKUlT_T0_E_clISt17integral_constantIbLb1EES18_EEDaS13_S14_EUlS13_E_NS1_11comp_targetILNS1_3genE9ELNS1_11target_archE1100ELNS1_3gpuE3ELNS1_3repE0EEENS1_30default_config_static_selectorELNS0_4arch9wavefront6targetE0EEEvT1_.numbered_sgpr, 0
	.set _ZN7rocprim17ROCPRIM_400000_NS6detail17trampoline_kernelINS0_14default_configENS1_29reduce_by_key_config_selectorIiiN6thrust23THRUST_200600_302600_NS4plusIiEEEEZZNS1_33reduce_by_key_impl_wrapped_configILNS1_25lookback_scan_determinismE0ES3_S9_NS6_18transform_iteratorI25linear_index_to_row_indexIiENS6_17counting_iteratorIiNS6_11use_defaultESG_SG_EESG_SG_EENS6_6detail15normal_iteratorINS6_10device_ptrIiEEEESN_SN_PmS8_NS6_8equal_toIiEEEE10hipError_tPvRmT2_T3_mT4_T5_T6_T7_T8_P12ihipStream_tbENKUlT_T0_E_clISt17integral_constantIbLb1EES18_EEDaS13_S14_EUlS13_E_NS1_11comp_targetILNS1_3genE9ELNS1_11target_archE1100ELNS1_3gpuE3ELNS1_3repE0EEENS1_30default_config_static_selectorELNS0_4arch9wavefront6targetE0EEEvT1_.num_named_barrier, 0
	.set _ZN7rocprim17ROCPRIM_400000_NS6detail17trampoline_kernelINS0_14default_configENS1_29reduce_by_key_config_selectorIiiN6thrust23THRUST_200600_302600_NS4plusIiEEEEZZNS1_33reduce_by_key_impl_wrapped_configILNS1_25lookback_scan_determinismE0ES3_S9_NS6_18transform_iteratorI25linear_index_to_row_indexIiENS6_17counting_iteratorIiNS6_11use_defaultESG_SG_EESG_SG_EENS6_6detail15normal_iteratorINS6_10device_ptrIiEEEESN_SN_PmS8_NS6_8equal_toIiEEEE10hipError_tPvRmT2_T3_mT4_T5_T6_T7_T8_P12ihipStream_tbENKUlT_T0_E_clISt17integral_constantIbLb1EES18_EEDaS13_S14_EUlS13_E_NS1_11comp_targetILNS1_3genE9ELNS1_11target_archE1100ELNS1_3gpuE3ELNS1_3repE0EEENS1_30default_config_static_selectorELNS0_4arch9wavefront6targetE0EEEvT1_.private_seg_size, 0
	.set _ZN7rocprim17ROCPRIM_400000_NS6detail17trampoline_kernelINS0_14default_configENS1_29reduce_by_key_config_selectorIiiN6thrust23THRUST_200600_302600_NS4plusIiEEEEZZNS1_33reduce_by_key_impl_wrapped_configILNS1_25lookback_scan_determinismE0ES3_S9_NS6_18transform_iteratorI25linear_index_to_row_indexIiENS6_17counting_iteratorIiNS6_11use_defaultESG_SG_EESG_SG_EENS6_6detail15normal_iteratorINS6_10device_ptrIiEEEESN_SN_PmS8_NS6_8equal_toIiEEEE10hipError_tPvRmT2_T3_mT4_T5_T6_T7_T8_P12ihipStream_tbENKUlT_T0_E_clISt17integral_constantIbLb1EES18_EEDaS13_S14_EUlS13_E_NS1_11comp_targetILNS1_3genE9ELNS1_11target_archE1100ELNS1_3gpuE3ELNS1_3repE0EEENS1_30default_config_static_selectorELNS0_4arch9wavefront6targetE0EEEvT1_.uses_vcc, 0
	.set _ZN7rocprim17ROCPRIM_400000_NS6detail17trampoline_kernelINS0_14default_configENS1_29reduce_by_key_config_selectorIiiN6thrust23THRUST_200600_302600_NS4plusIiEEEEZZNS1_33reduce_by_key_impl_wrapped_configILNS1_25lookback_scan_determinismE0ES3_S9_NS6_18transform_iteratorI25linear_index_to_row_indexIiENS6_17counting_iteratorIiNS6_11use_defaultESG_SG_EESG_SG_EENS6_6detail15normal_iteratorINS6_10device_ptrIiEEEESN_SN_PmS8_NS6_8equal_toIiEEEE10hipError_tPvRmT2_T3_mT4_T5_T6_T7_T8_P12ihipStream_tbENKUlT_T0_E_clISt17integral_constantIbLb1EES18_EEDaS13_S14_EUlS13_E_NS1_11comp_targetILNS1_3genE9ELNS1_11target_archE1100ELNS1_3gpuE3ELNS1_3repE0EEENS1_30default_config_static_selectorELNS0_4arch9wavefront6targetE0EEEvT1_.uses_flat_scratch, 0
	.set _ZN7rocprim17ROCPRIM_400000_NS6detail17trampoline_kernelINS0_14default_configENS1_29reduce_by_key_config_selectorIiiN6thrust23THRUST_200600_302600_NS4plusIiEEEEZZNS1_33reduce_by_key_impl_wrapped_configILNS1_25lookback_scan_determinismE0ES3_S9_NS6_18transform_iteratorI25linear_index_to_row_indexIiENS6_17counting_iteratorIiNS6_11use_defaultESG_SG_EESG_SG_EENS6_6detail15normal_iteratorINS6_10device_ptrIiEEEESN_SN_PmS8_NS6_8equal_toIiEEEE10hipError_tPvRmT2_T3_mT4_T5_T6_T7_T8_P12ihipStream_tbENKUlT_T0_E_clISt17integral_constantIbLb1EES18_EEDaS13_S14_EUlS13_E_NS1_11comp_targetILNS1_3genE9ELNS1_11target_archE1100ELNS1_3gpuE3ELNS1_3repE0EEENS1_30default_config_static_selectorELNS0_4arch9wavefront6targetE0EEEvT1_.has_dyn_sized_stack, 0
	.set _ZN7rocprim17ROCPRIM_400000_NS6detail17trampoline_kernelINS0_14default_configENS1_29reduce_by_key_config_selectorIiiN6thrust23THRUST_200600_302600_NS4plusIiEEEEZZNS1_33reduce_by_key_impl_wrapped_configILNS1_25lookback_scan_determinismE0ES3_S9_NS6_18transform_iteratorI25linear_index_to_row_indexIiENS6_17counting_iteratorIiNS6_11use_defaultESG_SG_EESG_SG_EENS6_6detail15normal_iteratorINS6_10device_ptrIiEEEESN_SN_PmS8_NS6_8equal_toIiEEEE10hipError_tPvRmT2_T3_mT4_T5_T6_T7_T8_P12ihipStream_tbENKUlT_T0_E_clISt17integral_constantIbLb1EES18_EEDaS13_S14_EUlS13_E_NS1_11comp_targetILNS1_3genE9ELNS1_11target_archE1100ELNS1_3gpuE3ELNS1_3repE0EEENS1_30default_config_static_selectorELNS0_4arch9wavefront6targetE0EEEvT1_.has_recursion, 0
	.set _ZN7rocprim17ROCPRIM_400000_NS6detail17trampoline_kernelINS0_14default_configENS1_29reduce_by_key_config_selectorIiiN6thrust23THRUST_200600_302600_NS4plusIiEEEEZZNS1_33reduce_by_key_impl_wrapped_configILNS1_25lookback_scan_determinismE0ES3_S9_NS6_18transform_iteratorI25linear_index_to_row_indexIiENS6_17counting_iteratorIiNS6_11use_defaultESG_SG_EESG_SG_EENS6_6detail15normal_iteratorINS6_10device_ptrIiEEEESN_SN_PmS8_NS6_8equal_toIiEEEE10hipError_tPvRmT2_T3_mT4_T5_T6_T7_T8_P12ihipStream_tbENKUlT_T0_E_clISt17integral_constantIbLb1EES18_EEDaS13_S14_EUlS13_E_NS1_11comp_targetILNS1_3genE9ELNS1_11target_archE1100ELNS1_3gpuE3ELNS1_3repE0EEENS1_30default_config_static_selectorELNS0_4arch9wavefront6targetE0EEEvT1_.has_indirect_call, 0
	.section	.AMDGPU.csdata,"",@progbits
; Kernel info:
; codeLenInByte = 0
; TotalNumSgprs: 0
; NumVgprs: 0
; ScratchSize: 0
; MemoryBound: 0
; FloatMode: 240
; IeeeMode: 1
; LDSByteSize: 0 bytes/workgroup (compile time only)
; SGPRBlocks: 0
; VGPRBlocks: 0
; NumSGPRsForWavesPerEU: 1
; NumVGPRsForWavesPerEU: 1
; Occupancy: 16
; WaveLimiterHint : 0
; COMPUTE_PGM_RSRC2:SCRATCH_EN: 0
; COMPUTE_PGM_RSRC2:USER_SGPR: 6
; COMPUTE_PGM_RSRC2:TRAP_HANDLER: 0
; COMPUTE_PGM_RSRC2:TGID_X_EN: 1
; COMPUTE_PGM_RSRC2:TGID_Y_EN: 0
; COMPUTE_PGM_RSRC2:TGID_Z_EN: 0
; COMPUTE_PGM_RSRC2:TIDIG_COMP_CNT: 0
	.section	.text._ZN7rocprim17ROCPRIM_400000_NS6detail17trampoline_kernelINS0_14default_configENS1_29reduce_by_key_config_selectorIiiN6thrust23THRUST_200600_302600_NS4plusIiEEEEZZNS1_33reduce_by_key_impl_wrapped_configILNS1_25lookback_scan_determinismE0ES3_S9_NS6_18transform_iteratorI25linear_index_to_row_indexIiENS6_17counting_iteratorIiNS6_11use_defaultESG_SG_EESG_SG_EENS6_6detail15normal_iteratorINS6_10device_ptrIiEEEESN_SN_PmS8_NS6_8equal_toIiEEEE10hipError_tPvRmT2_T3_mT4_T5_T6_T7_T8_P12ihipStream_tbENKUlT_T0_E_clISt17integral_constantIbLb1EES18_EEDaS13_S14_EUlS13_E_NS1_11comp_targetILNS1_3genE8ELNS1_11target_archE1030ELNS1_3gpuE2ELNS1_3repE0EEENS1_30default_config_static_selectorELNS0_4arch9wavefront6targetE0EEEvT1_,"axG",@progbits,_ZN7rocprim17ROCPRIM_400000_NS6detail17trampoline_kernelINS0_14default_configENS1_29reduce_by_key_config_selectorIiiN6thrust23THRUST_200600_302600_NS4plusIiEEEEZZNS1_33reduce_by_key_impl_wrapped_configILNS1_25lookback_scan_determinismE0ES3_S9_NS6_18transform_iteratorI25linear_index_to_row_indexIiENS6_17counting_iteratorIiNS6_11use_defaultESG_SG_EESG_SG_EENS6_6detail15normal_iteratorINS6_10device_ptrIiEEEESN_SN_PmS8_NS6_8equal_toIiEEEE10hipError_tPvRmT2_T3_mT4_T5_T6_T7_T8_P12ihipStream_tbENKUlT_T0_E_clISt17integral_constantIbLb1EES18_EEDaS13_S14_EUlS13_E_NS1_11comp_targetILNS1_3genE8ELNS1_11target_archE1030ELNS1_3gpuE2ELNS1_3repE0EEENS1_30default_config_static_selectorELNS0_4arch9wavefront6targetE0EEEvT1_,comdat
	.protected	_ZN7rocprim17ROCPRIM_400000_NS6detail17trampoline_kernelINS0_14default_configENS1_29reduce_by_key_config_selectorIiiN6thrust23THRUST_200600_302600_NS4plusIiEEEEZZNS1_33reduce_by_key_impl_wrapped_configILNS1_25lookback_scan_determinismE0ES3_S9_NS6_18transform_iteratorI25linear_index_to_row_indexIiENS6_17counting_iteratorIiNS6_11use_defaultESG_SG_EESG_SG_EENS6_6detail15normal_iteratorINS6_10device_ptrIiEEEESN_SN_PmS8_NS6_8equal_toIiEEEE10hipError_tPvRmT2_T3_mT4_T5_T6_T7_T8_P12ihipStream_tbENKUlT_T0_E_clISt17integral_constantIbLb1EES18_EEDaS13_S14_EUlS13_E_NS1_11comp_targetILNS1_3genE8ELNS1_11target_archE1030ELNS1_3gpuE2ELNS1_3repE0EEENS1_30default_config_static_selectorELNS0_4arch9wavefront6targetE0EEEvT1_ ; -- Begin function _ZN7rocprim17ROCPRIM_400000_NS6detail17trampoline_kernelINS0_14default_configENS1_29reduce_by_key_config_selectorIiiN6thrust23THRUST_200600_302600_NS4plusIiEEEEZZNS1_33reduce_by_key_impl_wrapped_configILNS1_25lookback_scan_determinismE0ES3_S9_NS6_18transform_iteratorI25linear_index_to_row_indexIiENS6_17counting_iteratorIiNS6_11use_defaultESG_SG_EESG_SG_EENS6_6detail15normal_iteratorINS6_10device_ptrIiEEEESN_SN_PmS8_NS6_8equal_toIiEEEE10hipError_tPvRmT2_T3_mT4_T5_T6_T7_T8_P12ihipStream_tbENKUlT_T0_E_clISt17integral_constantIbLb1EES18_EEDaS13_S14_EUlS13_E_NS1_11comp_targetILNS1_3genE8ELNS1_11target_archE1030ELNS1_3gpuE2ELNS1_3repE0EEENS1_30default_config_static_selectorELNS0_4arch9wavefront6targetE0EEEvT1_
	.globl	_ZN7rocprim17ROCPRIM_400000_NS6detail17trampoline_kernelINS0_14default_configENS1_29reduce_by_key_config_selectorIiiN6thrust23THRUST_200600_302600_NS4plusIiEEEEZZNS1_33reduce_by_key_impl_wrapped_configILNS1_25lookback_scan_determinismE0ES3_S9_NS6_18transform_iteratorI25linear_index_to_row_indexIiENS6_17counting_iteratorIiNS6_11use_defaultESG_SG_EESG_SG_EENS6_6detail15normal_iteratorINS6_10device_ptrIiEEEESN_SN_PmS8_NS6_8equal_toIiEEEE10hipError_tPvRmT2_T3_mT4_T5_T6_T7_T8_P12ihipStream_tbENKUlT_T0_E_clISt17integral_constantIbLb1EES18_EEDaS13_S14_EUlS13_E_NS1_11comp_targetILNS1_3genE8ELNS1_11target_archE1030ELNS1_3gpuE2ELNS1_3repE0EEENS1_30default_config_static_selectorELNS0_4arch9wavefront6targetE0EEEvT1_
	.p2align	8
	.type	_ZN7rocprim17ROCPRIM_400000_NS6detail17trampoline_kernelINS0_14default_configENS1_29reduce_by_key_config_selectorIiiN6thrust23THRUST_200600_302600_NS4plusIiEEEEZZNS1_33reduce_by_key_impl_wrapped_configILNS1_25lookback_scan_determinismE0ES3_S9_NS6_18transform_iteratorI25linear_index_to_row_indexIiENS6_17counting_iteratorIiNS6_11use_defaultESG_SG_EESG_SG_EENS6_6detail15normal_iteratorINS6_10device_ptrIiEEEESN_SN_PmS8_NS6_8equal_toIiEEEE10hipError_tPvRmT2_T3_mT4_T5_T6_T7_T8_P12ihipStream_tbENKUlT_T0_E_clISt17integral_constantIbLb1EES18_EEDaS13_S14_EUlS13_E_NS1_11comp_targetILNS1_3genE8ELNS1_11target_archE1030ELNS1_3gpuE2ELNS1_3repE0EEENS1_30default_config_static_selectorELNS0_4arch9wavefront6targetE0EEEvT1_,@function
_ZN7rocprim17ROCPRIM_400000_NS6detail17trampoline_kernelINS0_14default_configENS1_29reduce_by_key_config_selectorIiiN6thrust23THRUST_200600_302600_NS4plusIiEEEEZZNS1_33reduce_by_key_impl_wrapped_configILNS1_25lookback_scan_determinismE0ES3_S9_NS6_18transform_iteratorI25linear_index_to_row_indexIiENS6_17counting_iteratorIiNS6_11use_defaultESG_SG_EESG_SG_EENS6_6detail15normal_iteratorINS6_10device_ptrIiEEEESN_SN_PmS8_NS6_8equal_toIiEEEE10hipError_tPvRmT2_T3_mT4_T5_T6_T7_T8_P12ihipStream_tbENKUlT_T0_E_clISt17integral_constantIbLb1EES18_EEDaS13_S14_EUlS13_E_NS1_11comp_targetILNS1_3genE8ELNS1_11target_archE1030ELNS1_3gpuE2ELNS1_3repE0EEENS1_30default_config_static_selectorELNS0_4arch9wavefront6targetE0EEEvT1_: ; @_ZN7rocprim17ROCPRIM_400000_NS6detail17trampoline_kernelINS0_14default_configENS1_29reduce_by_key_config_selectorIiiN6thrust23THRUST_200600_302600_NS4plusIiEEEEZZNS1_33reduce_by_key_impl_wrapped_configILNS1_25lookback_scan_determinismE0ES3_S9_NS6_18transform_iteratorI25linear_index_to_row_indexIiENS6_17counting_iteratorIiNS6_11use_defaultESG_SG_EESG_SG_EENS6_6detail15normal_iteratorINS6_10device_ptrIiEEEESN_SN_PmS8_NS6_8equal_toIiEEEE10hipError_tPvRmT2_T3_mT4_T5_T6_T7_T8_P12ihipStream_tbENKUlT_T0_E_clISt17integral_constantIbLb1EES18_EEDaS13_S14_EUlS13_E_NS1_11comp_targetILNS1_3genE8ELNS1_11target_archE1030ELNS1_3gpuE2ELNS1_3repE0EEENS1_30default_config_static_selectorELNS0_4arch9wavefront6targetE0EEEvT1_
; %bb.0:
	s_endpgm
	.section	.rodata,"a",@progbits
	.p2align	6, 0x0
	.amdhsa_kernel _ZN7rocprim17ROCPRIM_400000_NS6detail17trampoline_kernelINS0_14default_configENS1_29reduce_by_key_config_selectorIiiN6thrust23THRUST_200600_302600_NS4plusIiEEEEZZNS1_33reduce_by_key_impl_wrapped_configILNS1_25lookback_scan_determinismE0ES3_S9_NS6_18transform_iteratorI25linear_index_to_row_indexIiENS6_17counting_iteratorIiNS6_11use_defaultESG_SG_EESG_SG_EENS6_6detail15normal_iteratorINS6_10device_ptrIiEEEESN_SN_PmS8_NS6_8equal_toIiEEEE10hipError_tPvRmT2_T3_mT4_T5_T6_T7_T8_P12ihipStream_tbENKUlT_T0_E_clISt17integral_constantIbLb1EES18_EEDaS13_S14_EUlS13_E_NS1_11comp_targetILNS1_3genE8ELNS1_11target_archE1030ELNS1_3gpuE2ELNS1_3repE0EEENS1_30default_config_static_selectorELNS0_4arch9wavefront6targetE0EEEvT1_
		.amdhsa_group_segment_fixed_size 0
		.amdhsa_private_segment_fixed_size 0
		.amdhsa_kernarg_size 120
		.amdhsa_user_sgpr_count 6
		.amdhsa_user_sgpr_private_segment_buffer 1
		.amdhsa_user_sgpr_dispatch_ptr 0
		.amdhsa_user_sgpr_queue_ptr 0
		.amdhsa_user_sgpr_kernarg_segment_ptr 1
		.amdhsa_user_sgpr_dispatch_id 0
		.amdhsa_user_sgpr_flat_scratch_init 0
		.amdhsa_user_sgpr_private_segment_size 0
		.amdhsa_wavefront_size32 1
		.amdhsa_uses_dynamic_stack 0
		.amdhsa_system_sgpr_private_segment_wavefront_offset 0
		.amdhsa_system_sgpr_workgroup_id_x 1
		.amdhsa_system_sgpr_workgroup_id_y 0
		.amdhsa_system_sgpr_workgroup_id_z 0
		.amdhsa_system_sgpr_workgroup_info 0
		.amdhsa_system_vgpr_workitem_id 0
		.amdhsa_next_free_vgpr 1
		.amdhsa_next_free_sgpr 1
		.amdhsa_reserve_vcc 0
		.amdhsa_reserve_flat_scratch 0
		.amdhsa_float_round_mode_32 0
		.amdhsa_float_round_mode_16_64 0
		.amdhsa_float_denorm_mode_32 3
		.amdhsa_float_denorm_mode_16_64 3
		.amdhsa_dx10_clamp 1
		.amdhsa_ieee_mode 1
		.amdhsa_fp16_overflow 0
		.amdhsa_workgroup_processor_mode 1
		.amdhsa_memory_ordered 1
		.amdhsa_forward_progress 1
		.amdhsa_shared_vgpr_count 0
		.amdhsa_exception_fp_ieee_invalid_op 0
		.amdhsa_exception_fp_denorm_src 0
		.amdhsa_exception_fp_ieee_div_zero 0
		.amdhsa_exception_fp_ieee_overflow 0
		.amdhsa_exception_fp_ieee_underflow 0
		.amdhsa_exception_fp_ieee_inexact 0
		.amdhsa_exception_int_div_zero 0
	.end_amdhsa_kernel
	.section	.text._ZN7rocprim17ROCPRIM_400000_NS6detail17trampoline_kernelINS0_14default_configENS1_29reduce_by_key_config_selectorIiiN6thrust23THRUST_200600_302600_NS4plusIiEEEEZZNS1_33reduce_by_key_impl_wrapped_configILNS1_25lookback_scan_determinismE0ES3_S9_NS6_18transform_iteratorI25linear_index_to_row_indexIiENS6_17counting_iteratorIiNS6_11use_defaultESG_SG_EESG_SG_EENS6_6detail15normal_iteratorINS6_10device_ptrIiEEEESN_SN_PmS8_NS6_8equal_toIiEEEE10hipError_tPvRmT2_T3_mT4_T5_T6_T7_T8_P12ihipStream_tbENKUlT_T0_E_clISt17integral_constantIbLb1EES18_EEDaS13_S14_EUlS13_E_NS1_11comp_targetILNS1_3genE8ELNS1_11target_archE1030ELNS1_3gpuE2ELNS1_3repE0EEENS1_30default_config_static_selectorELNS0_4arch9wavefront6targetE0EEEvT1_,"axG",@progbits,_ZN7rocprim17ROCPRIM_400000_NS6detail17trampoline_kernelINS0_14default_configENS1_29reduce_by_key_config_selectorIiiN6thrust23THRUST_200600_302600_NS4plusIiEEEEZZNS1_33reduce_by_key_impl_wrapped_configILNS1_25lookback_scan_determinismE0ES3_S9_NS6_18transform_iteratorI25linear_index_to_row_indexIiENS6_17counting_iteratorIiNS6_11use_defaultESG_SG_EESG_SG_EENS6_6detail15normal_iteratorINS6_10device_ptrIiEEEESN_SN_PmS8_NS6_8equal_toIiEEEE10hipError_tPvRmT2_T3_mT4_T5_T6_T7_T8_P12ihipStream_tbENKUlT_T0_E_clISt17integral_constantIbLb1EES18_EEDaS13_S14_EUlS13_E_NS1_11comp_targetILNS1_3genE8ELNS1_11target_archE1030ELNS1_3gpuE2ELNS1_3repE0EEENS1_30default_config_static_selectorELNS0_4arch9wavefront6targetE0EEEvT1_,comdat
.Lfunc_end29:
	.size	_ZN7rocprim17ROCPRIM_400000_NS6detail17trampoline_kernelINS0_14default_configENS1_29reduce_by_key_config_selectorIiiN6thrust23THRUST_200600_302600_NS4plusIiEEEEZZNS1_33reduce_by_key_impl_wrapped_configILNS1_25lookback_scan_determinismE0ES3_S9_NS6_18transform_iteratorI25linear_index_to_row_indexIiENS6_17counting_iteratorIiNS6_11use_defaultESG_SG_EESG_SG_EENS6_6detail15normal_iteratorINS6_10device_ptrIiEEEESN_SN_PmS8_NS6_8equal_toIiEEEE10hipError_tPvRmT2_T3_mT4_T5_T6_T7_T8_P12ihipStream_tbENKUlT_T0_E_clISt17integral_constantIbLb1EES18_EEDaS13_S14_EUlS13_E_NS1_11comp_targetILNS1_3genE8ELNS1_11target_archE1030ELNS1_3gpuE2ELNS1_3repE0EEENS1_30default_config_static_selectorELNS0_4arch9wavefront6targetE0EEEvT1_, .Lfunc_end29-_ZN7rocprim17ROCPRIM_400000_NS6detail17trampoline_kernelINS0_14default_configENS1_29reduce_by_key_config_selectorIiiN6thrust23THRUST_200600_302600_NS4plusIiEEEEZZNS1_33reduce_by_key_impl_wrapped_configILNS1_25lookback_scan_determinismE0ES3_S9_NS6_18transform_iteratorI25linear_index_to_row_indexIiENS6_17counting_iteratorIiNS6_11use_defaultESG_SG_EESG_SG_EENS6_6detail15normal_iteratorINS6_10device_ptrIiEEEESN_SN_PmS8_NS6_8equal_toIiEEEE10hipError_tPvRmT2_T3_mT4_T5_T6_T7_T8_P12ihipStream_tbENKUlT_T0_E_clISt17integral_constantIbLb1EES18_EEDaS13_S14_EUlS13_E_NS1_11comp_targetILNS1_3genE8ELNS1_11target_archE1030ELNS1_3gpuE2ELNS1_3repE0EEENS1_30default_config_static_selectorELNS0_4arch9wavefront6targetE0EEEvT1_
                                        ; -- End function
	.set _ZN7rocprim17ROCPRIM_400000_NS6detail17trampoline_kernelINS0_14default_configENS1_29reduce_by_key_config_selectorIiiN6thrust23THRUST_200600_302600_NS4plusIiEEEEZZNS1_33reduce_by_key_impl_wrapped_configILNS1_25lookback_scan_determinismE0ES3_S9_NS6_18transform_iteratorI25linear_index_to_row_indexIiENS6_17counting_iteratorIiNS6_11use_defaultESG_SG_EESG_SG_EENS6_6detail15normal_iteratorINS6_10device_ptrIiEEEESN_SN_PmS8_NS6_8equal_toIiEEEE10hipError_tPvRmT2_T3_mT4_T5_T6_T7_T8_P12ihipStream_tbENKUlT_T0_E_clISt17integral_constantIbLb1EES18_EEDaS13_S14_EUlS13_E_NS1_11comp_targetILNS1_3genE8ELNS1_11target_archE1030ELNS1_3gpuE2ELNS1_3repE0EEENS1_30default_config_static_selectorELNS0_4arch9wavefront6targetE0EEEvT1_.num_vgpr, 0
	.set _ZN7rocprim17ROCPRIM_400000_NS6detail17trampoline_kernelINS0_14default_configENS1_29reduce_by_key_config_selectorIiiN6thrust23THRUST_200600_302600_NS4plusIiEEEEZZNS1_33reduce_by_key_impl_wrapped_configILNS1_25lookback_scan_determinismE0ES3_S9_NS6_18transform_iteratorI25linear_index_to_row_indexIiENS6_17counting_iteratorIiNS6_11use_defaultESG_SG_EESG_SG_EENS6_6detail15normal_iteratorINS6_10device_ptrIiEEEESN_SN_PmS8_NS6_8equal_toIiEEEE10hipError_tPvRmT2_T3_mT4_T5_T6_T7_T8_P12ihipStream_tbENKUlT_T0_E_clISt17integral_constantIbLb1EES18_EEDaS13_S14_EUlS13_E_NS1_11comp_targetILNS1_3genE8ELNS1_11target_archE1030ELNS1_3gpuE2ELNS1_3repE0EEENS1_30default_config_static_selectorELNS0_4arch9wavefront6targetE0EEEvT1_.num_agpr, 0
	.set _ZN7rocprim17ROCPRIM_400000_NS6detail17trampoline_kernelINS0_14default_configENS1_29reduce_by_key_config_selectorIiiN6thrust23THRUST_200600_302600_NS4plusIiEEEEZZNS1_33reduce_by_key_impl_wrapped_configILNS1_25lookback_scan_determinismE0ES3_S9_NS6_18transform_iteratorI25linear_index_to_row_indexIiENS6_17counting_iteratorIiNS6_11use_defaultESG_SG_EESG_SG_EENS6_6detail15normal_iteratorINS6_10device_ptrIiEEEESN_SN_PmS8_NS6_8equal_toIiEEEE10hipError_tPvRmT2_T3_mT4_T5_T6_T7_T8_P12ihipStream_tbENKUlT_T0_E_clISt17integral_constantIbLb1EES18_EEDaS13_S14_EUlS13_E_NS1_11comp_targetILNS1_3genE8ELNS1_11target_archE1030ELNS1_3gpuE2ELNS1_3repE0EEENS1_30default_config_static_selectorELNS0_4arch9wavefront6targetE0EEEvT1_.numbered_sgpr, 0
	.set _ZN7rocprim17ROCPRIM_400000_NS6detail17trampoline_kernelINS0_14default_configENS1_29reduce_by_key_config_selectorIiiN6thrust23THRUST_200600_302600_NS4plusIiEEEEZZNS1_33reduce_by_key_impl_wrapped_configILNS1_25lookback_scan_determinismE0ES3_S9_NS6_18transform_iteratorI25linear_index_to_row_indexIiENS6_17counting_iteratorIiNS6_11use_defaultESG_SG_EESG_SG_EENS6_6detail15normal_iteratorINS6_10device_ptrIiEEEESN_SN_PmS8_NS6_8equal_toIiEEEE10hipError_tPvRmT2_T3_mT4_T5_T6_T7_T8_P12ihipStream_tbENKUlT_T0_E_clISt17integral_constantIbLb1EES18_EEDaS13_S14_EUlS13_E_NS1_11comp_targetILNS1_3genE8ELNS1_11target_archE1030ELNS1_3gpuE2ELNS1_3repE0EEENS1_30default_config_static_selectorELNS0_4arch9wavefront6targetE0EEEvT1_.num_named_barrier, 0
	.set _ZN7rocprim17ROCPRIM_400000_NS6detail17trampoline_kernelINS0_14default_configENS1_29reduce_by_key_config_selectorIiiN6thrust23THRUST_200600_302600_NS4plusIiEEEEZZNS1_33reduce_by_key_impl_wrapped_configILNS1_25lookback_scan_determinismE0ES3_S9_NS6_18transform_iteratorI25linear_index_to_row_indexIiENS6_17counting_iteratorIiNS6_11use_defaultESG_SG_EESG_SG_EENS6_6detail15normal_iteratorINS6_10device_ptrIiEEEESN_SN_PmS8_NS6_8equal_toIiEEEE10hipError_tPvRmT2_T3_mT4_T5_T6_T7_T8_P12ihipStream_tbENKUlT_T0_E_clISt17integral_constantIbLb1EES18_EEDaS13_S14_EUlS13_E_NS1_11comp_targetILNS1_3genE8ELNS1_11target_archE1030ELNS1_3gpuE2ELNS1_3repE0EEENS1_30default_config_static_selectorELNS0_4arch9wavefront6targetE0EEEvT1_.private_seg_size, 0
	.set _ZN7rocprim17ROCPRIM_400000_NS6detail17trampoline_kernelINS0_14default_configENS1_29reduce_by_key_config_selectorIiiN6thrust23THRUST_200600_302600_NS4plusIiEEEEZZNS1_33reduce_by_key_impl_wrapped_configILNS1_25lookback_scan_determinismE0ES3_S9_NS6_18transform_iteratorI25linear_index_to_row_indexIiENS6_17counting_iteratorIiNS6_11use_defaultESG_SG_EESG_SG_EENS6_6detail15normal_iteratorINS6_10device_ptrIiEEEESN_SN_PmS8_NS6_8equal_toIiEEEE10hipError_tPvRmT2_T3_mT4_T5_T6_T7_T8_P12ihipStream_tbENKUlT_T0_E_clISt17integral_constantIbLb1EES18_EEDaS13_S14_EUlS13_E_NS1_11comp_targetILNS1_3genE8ELNS1_11target_archE1030ELNS1_3gpuE2ELNS1_3repE0EEENS1_30default_config_static_selectorELNS0_4arch9wavefront6targetE0EEEvT1_.uses_vcc, 0
	.set _ZN7rocprim17ROCPRIM_400000_NS6detail17trampoline_kernelINS0_14default_configENS1_29reduce_by_key_config_selectorIiiN6thrust23THRUST_200600_302600_NS4plusIiEEEEZZNS1_33reduce_by_key_impl_wrapped_configILNS1_25lookback_scan_determinismE0ES3_S9_NS6_18transform_iteratorI25linear_index_to_row_indexIiENS6_17counting_iteratorIiNS6_11use_defaultESG_SG_EESG_SG_EENS6_6detail15normal_iteratorINS6_10device_ptrIiEEEESN_SN_PmS8_NS6_8equal_toIiEEEE10hipError_tPvRmT2_T3_mT4_T5_T6_T7_T8_P12ihipStream_tbENKUlT_T0_E_clISt17integral_constantIbLb1EES18_EEDaS13_S14_EUlS13_E_NS1_11comp_targetILNS1_3genE8ELNS1_11target_archE1030ELNS1_3gpuE2ELNS1_3repE0EEENS1_30default_config_static_selectorELNS0_4arch9wavefront6targetE0EEEvT1_.uses_flat_scratch, 0
	.set _ZN7rocprim17ROCPRIM_400000_NS6detail17trampoline_kernelINS0_14default_configENS1_29reduce_by_key_config_selectorIiiN6thrust23THRUST_200600_302600_NS4plusIiEEEEZZNS1_33reduce_by_key_impl_wrapped_configILNS1_25lookback_scan_determinismE0ES3_S9_NS6_18transform_iteratorI25linear_index_to_row_indexIiENS6_17counting_iteratorIiNS6_11use_defaultESG_SG_EESG_SG_EENS6_6detail15normal_iteratorINS6_10device_ptrIiEEEESN_SN_PmS8_NS6_8equal_toIiEEEE10hipError_tPvRmT2_T3_mT4_T5_T6_T7_T8_P12ihipStream_tbENKUlT_T0_E_clISt17integral_constantIbLb1EES18_EEDaS13_S14_EUlS13_E_NS1_11comp_targetILNS1_3genE8ELNS1_11target_archE1030ELNS1_3gpuE2ELNS1_3repE0EEENS1_30default_config_static_selectorELNS0_4arch9wavefront6targetE0EEEvT1_.has_dyn_sized_stack, 0
	.set _ZN7rocprim17ROCPRIM_400000_NS6detail17trampoline_kernelINS0_14default_configENS1_29reduce_by_key_config_selectorIiiN6thrust23THRUST_200600_302600_NS4plusIiEEEEZZNS1_33reduce_by_key_impl_wrapped_configILNS1_25lookback_scan_determinismE0ES3_S9_NS6_18transform_iteratorI25linear_index_to_row_indexIiENS6_17counting_iteratorIiNS6_11use_defaultESG_SG_EESG_SG_EENS6_6detail15normal_iteratorINS6_10device_ptrIiEEEESN_SN_PmS8_NS6_8equal_toIiEEEE10hipError_tPvRmT2_T3_mT4_T5_T6_T7_T8_P12ihipStream_tbENKUlT_T0_E_clISt17integral_constantIbLb1EES18_EEDaS13_S14_EUlS13_E_NS1_11comp_targetILNS1_3genE8ELNS1_11target_archE1030ELNS1_3gpuE2ELNS1_3repE0EEENS1_30default_config_static_selectorELNS0_4arch9wavefront6targetE0EEEvT1_.has_recursion, 0
	.set _ZN7rocprim17ROCPRIM_400000_NS6detail17trampoline_kernelINS0_14default_configENS1_29reduce_by_key_config_selectorIiiN6thrust23THRUST_200600_302600_NS4plusIiEEEEZZNS1_33reduce_by_key_impl_wrapped_configILNS1_25lookback_scan_determinismE0ES3_S9_NS6_18transform_iteratorI25linear_index_to_row_indexIiENS6_17counting_iteratorIiNS6_11use_defaultESG_SG_EESG_SG_EENS6_6detail15normal_iteratorINS6_10device_ptrIiEEEESN_SN_PmS8_NS6_8equal_toIiEEEE10hipError_tPvRmT2_T3_mT4_T5_T6_T7_T8_P12ihipStream_tbENKUlT_T0_E_clISt17integral_constantIbLb1EES18_EEDaS13_S14_EUlS13_E_NS1_11comp_targetILNS1_3genE8ELNS1_11target_archE1030ELNS1_3gpuE2ELNS1_3repE0EEENS1_30default_config_static_selectorELNS0_4arch9wavefront6targetE0EEEvT1_.has_indirect_call, 0
	.section	.AMDGPU.csdata,"",@progbits
; Kernel info:
; codeLenInByte = 4
; TotalNumSgprs: 0
; NumVgprs: 0
; ScratchSize: 0
; MemoryBound: 0
; FloatMode: 240
; IeeeMode: 1
; LDSByteSize: 0 bytes/workgroup (compile time only)
; SGPRBlocks: 0
; VGPRBlocks: 0
; NumSGPRsForWavesPerEU: 1
; NumVGPRsForWavesPerEU: 1
; Occupancy: 16
; WaveLimiterHint : 0
; COMPUTE_PGM_RSRC2:SCRATCH_EN: 0
; COMPUTE_PGM_RSRC2:USER_SGPR: 6
; COMPUTE_PGM_RSRC2:TRAP_HANDLER: 0
; COMPUTE_PGM_RSRC2:TGID_X_EN: 1
; COMPUTE_PGM_RSRC2:TGID_Y_EN: 0
; COMPUTE_PGM_RSRC2:TGID_Z_EN: 0
; COMPUTE_PGM_RSRC2:TIDIG_COMP_CNT: 0
	.section	.text._ZN7rocprim17ROCPRIM_400000_NS6detail25reduce_by_key_init_kernelINS1_19lookback_scan_stateINS0_5tupleIJjiEEELb1ELb1EEEiNS1_16block_id_wrapperIjLb0EEEEEvT_jbjPmPT0_T1_,"axG",@progbits,_ZN7rocprim17ROCPRIM_400000_NS6detail25reduce_by_key_init_kernelINS1_19lookback_scan_stateINS0_5tupleIJjiEEELb1ELb1EEEiNS1_16block_id_wrapperIjLb0EEEEEvT_jbjPmPT0_T1_,comdat
	.protected	_ZN7rocprim17ROCPRIM_400000_NS6detail25reduce_by_key_init_kernelINS1_19lookback_scan_stateINS0_5tupleIJjiEEELb1ELb1EEEiNS1_16block_id_wrapperIjLb0EEEEEvT_jbjPmPT0_T1_ ; -- Begin function _ZN7rocprim17ROCPRIM_400000_NS6detail25reduce_by_key_init_kernelINS1_19lookback_scan_stateINS0_5tupleIJjiEEELb1ELb1EEEiNS1_16block_id_wrapperIjLb0EEEEEvT_jbjPmPT0_T1_
	.globl	_ZN7rocprim17ROCPRIM_400000_NS6detail25reduce_by_key_init_kernelINS1_19lookback_scan_stateINS0_5tupleIJjiEEELb1ELb1EEEiNS1_16block_id_wrapperIjLb0EEEEEvT_jbjPmPT0_T1_
	.p2align	8
	.type	_ZN7rocprim17ROCPRIM_400000_NS6detail25reduce_by_key_init_kernelINS1_19lookback_scan_stateINS0_5tupleIJjiEEELb1ELb1EEEiNS1_16block_id_wrapperIjLb0EEEEEvT_jbjPmPT0_T1_,@function
_ZN7rocprim17ROCPRIM_400000_NS6detail25reduce_by_key_init_kernelINS1_19lookback_scan_stateINS0_5tupleIJjiEEELb1ELb1EEEiNS1_16block_id_wrapperIjLb0EEEEEvT_jbjPmPT0_T1_: ; @_ZN7rocprim17ROCPRIM_400000_NS6detail25reduce_by_key_init_kernelINS1_19lookback_scan_stateINS0_5tupleIJjiEEELb1ELb1EEEiNS1_16block_id_wrapperIjLb0EEEEEvT_jbjPmPT0_T1_
; %bb.0:
	s_clause 0x2
	s_load_dword s2, s[4:5], 0x3c
	s_load_dwordx8 s[8:15], s[4:5], 0x8
	s_load_dwordx2 s[0:1], s[4:5], 0x0
	s_waitcnt lgkmcnt(0)
	s_and_b32 s2, s2, 0xffff
	v_mad_u64_u32 v[0:1], null, s6, s2, v[0:1]
	s_and_b32 s2, s9, 1
	s_cmp_eq_u32 s2, 0
	s_mov_b32 s2, -1
	s_cbranch_scc1 .LBB30_7
; %bb.1:
	s_andn2_b32 vcc_lo, exec_lo, s2
	s_cbranch_vccz .LBB30_16
.LBB30_2:
	s_mov_b32 s2, exec_lo
	v_cmpx_gt_u32_e64 s8, v0
	s_cbranch_execz .LBB30_4
.LBB30_3:
	v_add_nc_u32_e32 v1, 32, v0
	v_mov_b32_e32 v2, 0
	v_lshlrev_b64 v[4:5], 4, v[1:2]
	v_mov_b32_e32 v1, v2
	v_mov_b32_e32 v3, v2
	v_add_co_u32 v6, vcc_lo, s0, v4
	v_add_co_ci_u32_e64 v7, null, s1, v5, vcc_lo
	v_mov_b32_e32 v4, v2
	global_store_dwordx4 v[6:7], v[1:4], off
.LBB30_4:
	s_or_b32 exec_lo, exec_lo, s2
	s_mov_b32 s2, exec_lo
	v_cmpx_gt_u32_e32 32, v0
	s_cbranch_execz .LBB30_6
; %bb.5:
	v_mov_b32_e32 v1, 0
	v_mov_b32_e32 v2, 0xff
	v_lshlrev_b64 v[3:4], 4, v[0:1]
	v_mov_b32_e32 v0, v1
	v_add_co_u32 v5, vcc_lo, s0, v3
	v_add_co_ci_u32_e64 v6, null, s1, v4, vcc_lo
	v_mov_b32_e32 v3, v1
	global_store_dwordx4 v[5:6], v[0:3], off
.LBB30_6:
	s_endpgm
.LBB30_7:
	s_cmp_lt_u32 s10, s8
	s_mov_b32 s6, exec_lo
	s_cselect_b32 s2, s10, 0
	v_cmpx_eq_u32_e64 s2, v0
	s_cbranch_execz .LBB30_15
; %bb.8:
	s_add_i32 s2, s10, 32
	s_mov_b32 s3, 0
	v_mov_b32_e32 v5, 0
	s_lshl_b64 s[4:5], s[2:3], 4
	s_mov_b32 s2, exec_lo
	s_add_u32 s4, s0, s4
	s_addc_u32 s5, s1, s5
	v_mov_b32_e32 v1, s4
	v_mov_b32_e32 v2, s5
	;;#ASMSTART
	global_load_dwordx4 v[1:4], v[1:2] off glc dlc	
s_waitcnt vmcnt(0)
	;;#ASMEND
	v_and_b32_e32 v4, 0xff, v3
	v_cmpx_eq_u64_e32 0, v[4:5]
	s_cbranch_execz .LBB30_14
; %bb.9:
	v_mov_b32_e32 v7, s5
	v_mov_b32_e32 v6, s4
	s_mov_b32 s4, 1
	.p2align	6
.LBB30_10:                              ; =>This Loop Header: Depth=1
                                        ;     Child Loop BB30_11 Depth 2
	s_mov_b32 s5, s4
.LBB30_11:                              ;   Parent Loop BB30_10 Depth=1
                                        ; =>  This Inner Loop Header: Depth=2
	s_add_i32 s5, s5, -1
	s_sleep 1
	s_cmp_eq_u32 s5, 0
	s_cbranch_scc0 .LBB30_11
; %bb.12:                               ;   in Loop: Header=BB30_10 Depth=1
	;;#ASMSTART
	global_load_dwordx4 v[1:4], v[6:7] off glc dlc	
s_waitcnt vmcnt(0)
	;;#ASMEND
	v_and_b32_e32 v4, 0xff, v3
	s_cmp_lt_u32 s4, 32
	s_cselect_b32 s5, -1, 0
	s_cmp_lg_u32 s5, 0
	v_cmp_ne_u64_e32 vcc_lo, 0, v[4:5]
	s_addc_u32 s4, s4, 0
	s_or_b32 s3, vcc_lo, s3
	s_andn2_b32 exec_lo, exec_lo, s3
	s_cbranch_execnz .LBB30_10
; %bb.13:
	s_or_b32 exec_lo, exec_lo, s3
.LBB30_14:
	s_or_b32 exec_lo, exec_lo, s2
	v_mov_b32_e32 v5, 0
	global_load_dwordx2 v[3:4], v5, s[12:13]
	s_waitcnt vmcnt(0)
	v_add_co_u32 v3, vcc_lo, v3, v1
	v_add_co_ci_u32_e64 v4, null, 0, v4, vcc_lo
	global_store_dwordx2 v5, v[3:4], s[12:13]
	global_store_dword v5, v2, s[14:15]
.LBB30_15:
	s_or_b32 exec_lo, exec_lo, s6
	s_cbranch_execnz .LBB30_2
.LBB30_16:
	v_cmp_eq_u32_e32 vcc_lo, 0, v0
	s_cmp_lg_u64 s[12:13], 0
	s_cselect_b32 s2, -1, 0
	s_and_b32 s3, s2, vcc_lo
	s_and_saveexec_b32 s2, s3
	s_cbranch_execz .LBB30_18
; %bb.17:
	v_mov_b32_e32 v1, 0
	v_mov_b32_e32 v2, v1
	global_store_dwordx2 v1, v[1:2], s[12:13]
.LBB30_18:
	s_or_b32 exec_lo, exec_lo, s2
	s_mov_b32 s2, exec_lo
	v_cmpx_gt_u32_e64 s8, v0
	s_cbranch_execnz .LBB30_3
	s_branch .LBB30_4
	.section	.rodata,"a",@progbits
	.p2align	6, 0x0
	.amdhsa_kernel _ZN7rocprim17ROCPRIM_400000_NS6detail25reduce_by_key_init_kernelINS1_19lookback_scan_stateINS0_5tupleIJjiEEELb1ELb1EEEiNS1_16block_id_wrapperIjLb0EEEEEvT_jbjPmPT0_T1_
		.amdhsa_group_segment_fixed_size 0
		.amdhsa_private_segment_fixed_size 0
		.amdhsa_kernarg_size 304
		.amdhsa_user_sgpr_count 6
		.amdhsa_user_sgpr_private_segment_buffer 1
		.amdhsa_user_sgpr_dispatch_ptr 0
		.amdhsa_user_sgpr_queue_ptr 0
		.amdhsa_user_sgpr_kernarg_segment_ptr 1
		.amdhsa_user_sgpr_dispatch_id 0
		.amdhsa_user_sgpr_flat_scratch_init 0
		.amdhsa_user_sgpr_private_segment_size 0
		.amdhsa_wavefront_size32 1
		.amdhsa_uses_dynamic_stack 0
		.amdhsa_system_sgpr_private_segment_wavefront_offset 0
		.amdhsa_system_sgpr_workgroup_id_x 1
		.amdhsa_system_sgpr_workgroup_id_y 0
		.amdhsa_system_sgpr_workgroup_id_z 0
		.amdhsa_system_sgpr_workgroup_info 0
		.amdhsa_system_vgpr_workitem_id 0
		.amdhsa_next_free_vgpr 8
		.amdhsa_next_free_sgpr 16
		.amdhsa_reserve_vcc 1
		.amdhsa_reserve_flat_scratch 0
		.amdhsa_float_round_mode_32 0
		.amdhsa_float_round_mode_16_64 0
		.amdhsa_float_denorm_mode_32 3
		.amdhsa_float_denorm_mode_16_64 3
		.amdhsa_dx10_clamp 1
		.amdhsa_ieee_mode 1
		.amdhsa_fp16_overflow 0
		.amdhsa_workgroup_processor_mode 1
		.amdhsa_memory_ordered 1
		.amdhsa_forward_progress 1
		.amdhsa_shared_vgpr_count 0
		.amdhsa_exception_fp_ieee_invalid_op 0
		.amdhsa_exception_fp_denorm_src 0
		.amdhsa_exception_fp_ieee_div_zero 0
		.amdhsa_exception_fp_ieee_overflow 0
		.amdhsa_exception_fp_ieee_underflow 0
		.amdhsa_exception_fp_ieee_inexact 0
		.amdhsa_exception_int_div_zero 0
	.end_amdhsa_kernel
	.section	.text._ZN7rocprim17ROCPRIM_400000_NS6detail25reduce_by_key_init_kernelINS1_19lookback_scan_stateINS0_5tupleIJjiEEELb1ELb1EEEiNS1_16block_id_wrapperIjLb0EEEEEvT_jbjPmPT0_T1_,"axG",@progbits,_ZN7rocprim17ROCPRIM_400000_NS6detail25reduce_by_key_init_kernelINS1_19lookback_scan_stateINS0_5tupleIJjiEEELb1ELb1EEEiNS1_16block_id_wrapperIjLb0EEEEEvT_jbjPmPT0_T1_,comdat
.Lfunc_end30:
	.size	_ZN7rocprim17ROCPRIM_400000_NS6detail25reduce_by_key_init_kernelINS1_19lookback_scan_stateINS0_5tupleIJjiEEELb1ELb1EEEiNS1_16block_id_wrapperIjLb0EEEEEvT_jbjPmPT0_T1_, .Lfunc_end30-_ZN7rocprim17ROCPRIM_400000_NS6detail25reduce_by_key_init_kernelINS1_19lookback_scan_stateINS0_5tupleIJjiEEELb1ELb1EEEiNS1_16block_id_wrapperIjLb0EEEEEvT_jbjPmPT0_T1_
                                        ; -- End function
	.set _ZN7rocprim17ROCPRIM_400000_NS6detail25reduce_by_key_init_kernelINS1_19lookback_scan_stateINS0_5tupleIJjiEEELb1ELb1EEEiNS1_16block_id_wrapperIjLb0EEEEEvT_jbjPmPT0_T1_.num_vgpr, 8
	.set _ZN7rocprim17ROCPRIM_400000_NS6detail25reduce_by_key_init_kernelINS1_19lookback_scan_stateINS0_5tupleIJjiEEELb1ELb1EEEiNS1_16block_id_wrapperIjLb0EEEEEvT_jbjPmPT0_T1_.num_agpr, 0
	.set _ZN7rocprim17ROCPRIM_400000_NS6detail25reduce_by_key_init_kernelINS1_19lookback_scan_stateINS0_5tupleIJjiEEELb1ELb1EEEiNS1_16block_id_wrapperIjLb0EEEEEvT_jbjPmPT0_T1_.numbered_sgpr, 16
	.set _ZN7rocprim17ROCPRIM_400000_NS6detail25reduce_by_key_init_kernelINS1_19lookback_scan_stateINS0_5tupleIJjiEEELb1ELb1EEEiNS1_16block_id_wrapperIjLb0EEEEEvT_jbjPmPT0_T1_.num_named_barrier, 0
	.set _ZN7rocprim17ROCPRIM_400000_NS6detail25reduce_by_key_init_kernelINS1_19lookback_scan_stateINS0_5tupleIJjiEEELb1ELb1EEEiNS1_16block_id_wrapperIjLb0EEEEEvT_jbjPmPT0_T1_.private_seg_size, 0
	.set _ZN7rocprim17ROCPRIM_400000_NS6detail25reduce_by_key_init_kernelINS1_19lookback_scan_stateINS0_5tupleIJjiEEELb1ELb1EEEiNS1_16block_id_wrapperIjLb0EEEEEvT_jbjPmPT0_T1_.uses_vcc, 1
	.set _ZN7rocprim17ROCPRIM_400000_NS6detail25reduce_by_key_init_kernelINS1_19lookback_scan_stateINS0_5tupleIJjiEEELb1ELb1EEEiNS1_16block_id_wrapperIjLb0EEEEEvT_jbjPmPT0_T1_.uses_flat_scratch, 0
	.set _ZN7rocprim17ROCPRIM_400000_NS6detail25reduce_by_key_init_kernelINS1_19lookback_scan_stateINS0_5tupleIJjiEEELb1ELb1EEEiNS1_16block_id_wrapperIjLb0EEEEEvT_jbjPmPT0_T1_.has_dyn_sized_stack, 0
	.set _ZN7rocprim17ROCPRIM_400000_NS6detail25reduce_by_key_init_kernelINS1_19lookback_scan_stateINS0_5tupleIJjiEEELb1ELb1EEEiNS1_16block_id_wrapperIjLb0EEEEEvT_jbjPmPT0_T1_.has_recursion, 0
	.set _ZN7rocprim17ROCPRIM_400000_NS6detail25reduce_by_key_init_kernelINS1_19lookback_scan_stateINS0_5tupleIJjiEEELb1ELb1EEEiNS1_16block_id_wrapperIjLb0EEEEEvT_jbjPmPT0_T1_.has_indirect_call, 0
	.section	.AMDGPU.csdata,"",@progbits
; Kernel info:
; codeLenInByte = 612
; TotalNumSgprs: 18
; NumVgprs: 8
; ScratchSize: 0
; MemoryBound: 0
; FloatMode: 240
; IeeeMode: 1
; LDSByteSize: 0 bytes/workgroup (compile time only)
; SGPRBlocks: 0
; VGPRBlocks: 0
; NumSGPRsForWavesPerEU: 18
; NumVGPRsForWavesPerEU: 8
; Occupancy: 16
; WaveLimiterHint : 0
; COMPUTE_PGM_RSRC2:SCRATCH_EN: 0
; COMPUTE_PGM_RSRC2:USER_SGPR: 6
; COMPUTE_PGM_RSRC2:TRAP_HANDLER: 0
; COMPUTE_PGM_RSRC2:TGID_X_EN: 1
; COMPUTE_PGM_RSRC2:TGID_Y_EN: 0
; COMPUTE_PGM_RSRC2:TGID_Z_EN: 0
; COMPUTE_PGM_RSRC2:TIDIG_COMP_CNT: 0
	.section	.text._ZN7rocprim17ROCPRIM_400000_NS6detail17trampoline_kernelINS0_14default_configENS1_29reduce_by_key_config_selectorIiiN6thrust23THRUST_200600_302600_NS4plusIiEEEEZZNS1_33reduce_by_key_impl_wrapped_configILNS1_25lookback_scan_determinismE0ES3_S9_NS6_18transform_iteratorI25linear_index_to_row_indexIiENS6_17counting_iteratorIiNS6_11use_defaultESG_SG_EESG_SG_EENS6_6detail15normal_iteratorINS6_10device_ptrIiEEEESN_SN_PmS8_NS6_8equal_toIiEEEE10hipError_tPvRmT2_T3_mT4_T5_T6_T7_T8_P12ihipStream_tbENKUlT_T0_E_clISt17integral_constantIbLb1EES17_IbLb0EEEEDaS13_S14_EUlS13_E_NS1_11comp_targetILNS1_3genE0ELNS1_11target_archE4294967295ELNS1_3gpuE0ELNS1_3repE0EEENS1_30default_config_static_selectorELNS0_4arch9wavefront6targetE0EEEvT1_,"axG",@progbits,_ZN7rocprim17ROCPRIM_400000_NS6detail17trampoline_kernelINS0_14default_configENS1_29reduce_by_key_config_selectorIiiN6thrust23THRUST_200600_302600_NS4plusIiEEEEZZNS1_33reduce_by_key_impl_wrapped_configILNS1_25lookback_scan_determinismE0ES3_S9_NS6_18transform_iteratorI25linear_index_to_row_indexIiENS6_17counting_iteratorIiNS6_11use_defaultESG_SG_EESG_SG_EENS6_6detail15normal_iteratorINS6_10device_ptrIiEEEESN_SN_PmS8_NS6_8equal_toIiEEEE10hipError_tPvRmT2_T3_mT4_T5_T6_T7_T8_P12ihipStream_tbENKUlT_T0_E_clISt17integral_constantIbLb1EES17_IbLb0EEEEDaS13_S14_EUlS13_E_NS1_11comp_targetILNS1_3genE0ELNS1_11target_archE4294967295ELNS1_3gpuE0ELNS1_3repE0EEENS1_30default_config_static_selectorELNS0_4arch9wavefront6targetE0EEEvT1_,comdat
	.protected	_ZN7rocprim17ROCPRIM_400000_NS6detail17trampoline_kernelINS0_14default_configENS1_29reduce_by_key_config_selectorIiiN6thrust23THRUST_200600_302600_NS4plusIiEEEEZZNS1_33reduce_by_key_impl_wrapped_configILNS1_25lookback_scan_determinismE0ES3_S9_NS6_18transform_iteratorI25linear_index_to_row_indexIiENS6_17counting_iteratorIiNS6_11use_defaultESG_SG_EESG_SG_EENS6_6detail15normal_iteratorINS6_10device_ptrIiEEEESN_SN_PmS8_NS6_8equal_toIiEEEE10hipError_tPvRmT2_T3_mT4_T5_T6_T7_T8_P12ihipStream_tbENKUlT_T0_E_clISt17integral_constantIbLb1EES17_IbLb0EEEEDaS13_S14_EUlS13_E_NS1_11comp_targetILNS1_3genE0ELNS1_11target_archE4294967295ELNS1_3gpuE0ELNS1_3repE0EEENS1_30default_config_static_selectorELNS0_4arch9wavefront6targetE0EEEvT1_ ; -- Begin function _ZN7rocprim17ROCPRIM_400000_NS6detail17trampoline_kernelINS0_14default_configENS1_29reduce_by_key_config_selectorIiiN6thrust23THRUST_200600_302600_NS4plusIiEEEEZZNS1_33reduce_by_key_impl_wrapped_configILNS1_25lookback_scan_determinismE0ES3_S9_NS6_18transform_iteratorI25linear_index_to_row_indexIiENS6_17counting_iteratorIiNS6_11use_defaultESG_SG_EESG_SG_EENS6_6detail15normal_iteratorINS6_10device_ptrIiEEEESN_SN_PmS8_NS6_8equal_toIiEEEE10hipError_tPvRmT2_T3_mT4_T5_T6_T7_T8_P12ihipStream_tbENKUlT_T0_E_clISt17integral_constantIbLb1EES17_IbLb0EEEEDaS13_S14_EUlS13_E_NS1_11comp_targetILNS1_3genE0ELNS1_11target_archE4294967295ELNS1_3gpuE0ELNS1_3repE0EEENS1_30default_config_static_selectorELNS0_4arch9wavefront6targetE0EEEvT1_
	.globl	_ZN7rocprim17ROCPRIM_400000_NS6detail17trampoline_kernelINS0_14default_configENS1_29reduce_by_key_config_selectorIiiN6thrust23THRUST_200600_302600_NS4plusIiEEEEZZNS1_33reduce_by_key_impl_wrapped_configILNS1_25lookback_scan_determinismE0ES3_S9_NS6_18transform_iteratorI25linear_index_to_row_indexIiENS6_17counting_iteratorIiNS6_11use_defaultESG_SG_EESG_SG_EENS6_6detail15normal_iteratorINS6_10device_ptrIiEEEESN_SN_PmS8_NS6_8equal_toIiEEEE10hipError_tPvRmT2_T3_mT4_T5_T6_T7_T8_P12ihipStream_tbENKUlT_T0_E_clISt17integral_constantIbLb1EES17_IbLb0EEEEDaS13_S14_EUlS13_E_NS1_11comp_targetILNS1_3genE0ELNS1_11target_archE4294967295ELNS1_3gpuE0ELNS1_3repE0EEENS1_30default_config_static_selectorELNS0_4arch9wavefront6targetE0EEEvT1_
	.p2align	8
	.type	_ZN7rocprim17ROCPRIM_400000_NS6detail17trampoline_kernelINS0_14default_configENS1_29reduce_by_key_config_selectorIiiN6thrust23THRUST_200600_302600_NS4plusIiEEEEZZNS1_33reduce_by_key_impl_wrapped_configILNS1_25lookback_scan_determinismE0ES3_S9_NS6_18transform_iteratorI25linear_index_to_row_indexIiENS6_17counting_iteratorIiNS6_11use_defaultESG_SG_EESG_SG_EENS6_6detail15normal_iteratorINS6_10device_ptrIiEEEESN_SN_PmS8_NS6_8equal_toIiEEEE10hipError_tPvRmT2_T3_mT4_T5_T6_T7_T8_P12ihipStream_tbENKUlT_T0_E_clISt17integral_constantIbLb1EES17_IbLb0EEEEDaS13_S14_EUlS13_E_NS1_11comp_targetILNS1_3genE0ELNS1_11target_archE4294967295ELNS1_3gpuE0ELNS1_3repE0EEENS1_30default_config_static_selectorELNS0_4arch9wavefront6targetE0EEEvT1_,@function
_ZN7rocprim17ROCPRIM_400000_NS6detail17trampoline_kernelINS0_14default_configENS1_29reduce_by_key_config_selectorIiiN6thrust23THRUST_200600_302600_NS4plusIiEEEEZZNS1_33reduce_by_key_impl_wrapped_configILNS1_25lookback_scan_determinismE0ES3_S9_NS6_18transform_iteratorI25linear_index_to_row_indexIiENS6_17counting_iteratorIiNS6_11use_defaultESG_SG_EESG_SG_EENS6_6detail15normal_iteratorINS6_10device_ptrIiEEEESN_SN_PmS8_NS6_8equal_toIiEEEE10hipError_tPvRmT2_T3_mT4_T5_T6_T7_T8_P12ihipStream_tbENKUlT_T0_E_clISt17integral_constantIbLb1EES17_IbLb0EEEEDaS13_S14_EUlS13_E_NS1_11comp_targetILNS1_3genE0ELNS1_11target_archE4294967295ELNS1_3gpuE0ELNS1_3repE0EEENS1_30default_config_static_selectorELNS0_4arch9wavefront6targetE0EEEvT1_: ; @_ZN7rocprim17ROCPRIM_400000_NS6detail17trampoline_kernelINS0_14default_configENS1_29reduce_by_key_config_selectorIiiN6thrust23THRUST_200600_302600_NS4plusIiEEEEZZNS1_33reduce_by_key_impl_wrapped_configILNS1_25lookback_scan_determinismE0ES3_S9_NS6_18transform_iteratorI25linear_index_to_row_indexIiENS6_17counting_iteratorIiNS6_11use_defaultESG_SG_EESG_SG_EENS6_6detail15normal_iteratorINS6_10device_ptrIiEEEESN_SN_PmS8_NS6_8equal_toIiEEEE10hipError_tPvRmT2_T3_mT4_T5_T6_T7_T8_P12ihipStream_tbENKUlT_T0_E_clISt17integral_constantIbLb1EES17_IbLb0EEEEDaS13_S14_EUlS13_E_NS1_11comp_targetILNS1_3genE0ELNS1_11target_archE4294967295ELNS1_3gpuE0ELNS1_3repE0EEENS1_30default_config_static_selectorELNS0_4arch9wavefront6targetE0EEEvT1_
; %bb.0:
	.section	.rodata,"a",@progbits
	.p2align	6, 0x0
	.amdhsa_kernel _ZN7rocprim17ROCPRIM_400000_NS6detail17trampoline_kernelINS0_14default_configENS1_29reduce_by_key_config_selectorIiiN6thrust23THRUST_200600_302600_NS4plusIiEEEEZZNS1_33reduce_by_key_impl_wrapped_configILNS1_25lookback_scan_determinismE0ES3_S9_NS6_18transform_iteratorI25linear_index_to_row_indexIiENS6_17counting_iteratorIiNS6_11use_defaultESG_SG_EESG_SG_EENS6_6detail15normal_iteratorINS6_10device_ptrIiEEEESN_SN_PmS8_NS6_8equal_toIiEEEE10hipError_tPvRmT2_T3_mT4_T5_T6_T7_T8_P12ihipStream_tbENKUlT_T0_E_clISt17integral_constantIbLb1EES17_IbLb0EEEEDaS13_S14_EUlS13_E_NS1_11comp_targetILNS1_3genE0ELNS1_11target_archE4294967295ELNS1_3gpuE0ELNS1_3repE0EEENS1_30default_config_static_selectorELNS0_4arch9wavefront6targetE0EEEvT1_
		.amdhsa_group_segment_fixed_size 0
		.amdhsa_private_segment_fixed_size 0
		.amdhsa_kernarg_size 120
		.amdhsa_user_sgpr_count 6
		.amdhsa_user_sgpr_private_segment_buffer 1
		.amdhsa_user_sgpr_dispatch_ptr 0
		.amdhsa_user_sgpr_queue_ptr 0
		.amdhsa_user_sgpr_kernarg_segment_ptr 1
		.amdhsa_user_sgpr_dispatch_id 0
		.amdhsa_user_sgpr_flat_scratch_init 0
		.amdhsa_user_sgpr_private_segment_size 0
		.amdhsa_wavefront_size32 1
		.amdhsa_uses_dynamic_stack 0
		.amdhsa_system_sgpr_private_segment_wavefront_offset 0
		.amdhsa_system_sgpr_workgroup_id_x 1
		.amdhsa_system_sgpr_workgroup_id_y 0
		.amdhsa_system_sgpr_workgroup_id_z 0
		.amdhsa_system_sgpr_workgroup_info 0
		.amdhsa_system_vgpr_workitem_id 0
		.amdhsa_next_free_vgpr 1
		.amdhsa_next_free_sgpr 1
		.amdhsa_reserve_vcc 0
		.amdhsa_reserve_flat_scratch 0
		.amdhsa_float_round_mode_32 0
		.amdhsa_float_round_mode_16_64 0
		.amdhsa_float_denorm_mode_32 3
		.amdhsa_float_denorm_mode_16_64 3
		.amdhsa_dx10_clamp 1
		.amdhsa_ieee_mode 1
		.amdhsa_fp16_overflow 0
		.amdhsa_workgroup_processor_mode 1
		.amdhsa_memory_ordered 1
		.amdhsa_forward_progress 1
		.amdhsa_shared_vgpr_count 0
		.amdhsa_exception_fp_ieee_invalid_op 0
		.amdhsa_exception_fp_denorm_src 0
		.amdhsa_exception_fp_ieee_div_zero 0
		.amdhsa_exception_fp_ieee_overflow 0
		.amdhsa_exception_fp_ieee_underflow 0
		.amdhsa_exception_fp_ieee_inexact 0
		.amdhsa_exception_int_div_zero 0
	.end_amdhsa_kernel
	.section	.text._ZN7rocprim17ROCPRIM_400000_NS6detail17trampoline_kernelINS0_14default_configENS1_29reduce_by_key_config_selectorIiiN6thrust23THRUST_200600_302600_NS4plusIiEEEEZZNS1_33reduce_by_key_impl_wrapped_configILNS1_25lookback_scan_determinismE0ES3_S9_NS6_18transform_iteratorI25linear_index_to_row_indexIiENS6_17counting_iteratorIiNS6_11use_defaultESG_SG_EESG_SG_EENS6_6detail15normal_iteratorINS6_10device_ptrIiEEEESN_SN_PmS8_NS6_8equal_toIiEEEE10hipError_tPvRmT2_T3_mT4_T5_T6_T7_T8_P12ihipStream_tbENKUlT_T0_E_clISt17integral_constantIbLb1EES17_IbLb0EEEEDaS13_S14_EUlS13_E_NS1_11comp_targetILNS1_3genE0ELNS1_11target_archE4294967295ELNS1_3gpuE0ELNS1_3repE0EEENS1_30default_config_static_selectorELNS0_4arch9wavefront6targetE0EEEvT1_,"axG",@progbits,_ZN7rocprim17ROCPRIM_400000_NS6detail17trampoline_kernelINS0_14default_configENS1_29reduce_by_key_config_selectorIiiN6thrust23THRUST_200600_302600_NS4plusIiEEEEZZNS1_33reduce_by_key_impl_wrapped_configILNS1_25lookback_scan_determinismE0ES3_S9_NS6_18transform_iteratorI25linear_index_to_row_indexIiENS6_17counting_iteratorIiNS6_11use_defaultESG_SG_EESG_SG_EENS6_6detail15normal_iteratorINS6_10device_ptrIiEEEESN_SN_PmS8_NS6_8equal_toIiEEEE10hipError_tPvRmT2_T3_mT4_T5_T6_T7_T8_P12ihipStream_tbENKUlT_T0_E_clISt17integral_constantIbLb1EES17_IbLb0EEEEDaS13_S14_EUlS13_E_NS1_11comp_targetILNS1_3genE0ELNS1_11target_archE4294967295ELNS1_3gpuE0ELNS1_3repE0EEENS1_30default_config_static_selectorELNS0_4arch9wavefront6targetE0EEEvT1_,comdat
.Lfunc_end31:
	.size	_ZN7rocprim17ROCPRIM_400000_NS6detail17trampoline_kernelINS0_14default_configENS1_29reduce_by_key_config_selectorIiiN6thrust23THRUST_200600_302600_NS4plusIiEEEEZZNS1_33reduce_by_key_impl_wrapped_configILNS1_25lookback_scan_determinismE0ES3_S9_NS6_18transform_iteratorI25linear_index_to_row_indexIiENS6_17counting_iteratorIiNS6_11use_defaultESG_SG_EESG_SG_EENS6_6detail15normal_iteratorINS6_10device_ptrIiEEEESN_SN_PmS8_NS6_8equal_toIiEEEE10hipError_tPvRmT2_T3_mT4_T5_T6_T7_T8_P12ihipStream_tbENKUlT_T0_E_clISt17integral_constantIbLb1EES17_IbLb0EEEEDaS13_S14_EUlS13_E_NS1_11comp_targetILNS1_3genE0ELNS1_11target_archE4294967295ELNS1_3gpuE0ELNS1_3repE0EEENS1_30default_config_static_selectorELNS0_4arch9wavefront6targetE0EEEvT1_, .Lfunc_end31-_ZN7rocprim17ROCPRIM_400000_NS6detail17trampoline_kernelINS0_14default_configENS1_29reduce_by_key_config_selectorIiiN6thrust23THRUST_200600_302600_NS4plusIiEEEEZZNS1_33reduce_by_key_impl_wrapped_configILNS1_25lookback_scan_determinismE0ES3_S9_NS6_18transform_iteratorI25linear_index_to_row_indexIiENS6_17counting_iteratorIiNS6_11use_defaultESG_SG_EESG_SG_EENS6_6detail15normal_iteratorINS6_10device_ptrIiEEEESN_SN_PmS8_NS6_8equal_toIiEEEE10hipError_tPvRmT2_T3_mT4_T5_T6_T7_T8_P12ihipStream_tbENKUlT_T0_E_clISt17integral_constantIbLb1EES17_IbLb0EEEEDaS13_S14_EUlS13_E_NS1_11comp_targetILNS1_3genE0ELNS1_11target_archE4294967295ELNS1_3gpuE0ELNS1_3repE0EEENS1_30default_config_static_selectorELNS0_4arch9wavefront6targetE0EEEvT1_
                                        ; -- End function
	.set _ZN7rocprim17ROCPRIM_400000_NS6detail17trampoline_kernelINS0_14default_configENS1_29reduce_by_key_config_selectorIiiN6thrust23THRUST_200600_302600_NS4plusIiEEEEZZNS1_33reduce_by_key_impl_wrapped_configILNS1_25lookback_scan_determinismE0ES3_S9_NS6_18transform_iteratorI25linear_index_to_row_indexIiENS6_17counting_iteratorIiNS6_11use_defaultESG_SG_EESG_SG_EENS6_6detail15normal_iteratorINS6_10device_ptrIiEEEESN_SN_PmS8_NS6_8equal_toIiEEEE10hipError_tPvRmT2_T3_mT4_T5_T6_T7_T8_P12ihipStream_tbENKUlT_T0_E_clISt17integral_constantIbLb1EES17_IbLb0EEEEDaS13_S14_EUlS13_E_NS1_11comp_targetILNS1_3genE0ELNS1_11target_archE4294967295ELNS1_3gpuE0ELNS1_3repE0EEENS1_30default_config_static_selectorELNS0_4arch9wavefront6targetE0EEEvT1_.num_vgpr, 0
	.set _ZN7rocprim17ROCPRIM_400000_NS6detail17trampoline_kernelINS0_14default_configENS1_29reduce_by_key_config_selectorIiiN6thrust23THRUST_200600_302600_NS4plusIiEEEEZZNS1_33reduce_by_key_impl_wrapped_configILNS1_25lookback_scan_determinismE0ES3_S9_NS6_18transform_iteratorI25linear_index_to_row_indexIiENS6_17counting_iteratorIiNS6_11use_defaultESG_SG_EESG_SG_EENS6_6detail15normal_iteratorINS6_10device_ptrIiEEEESN_SN_PmS8_NS6_8equal_toIiEEEE10hipError_tPvRmT2_T3_mT4_T5_T6_T7_T8_P12ihipStream_tbENKUlT_T0_E_clISt17integral_constantIbLb1EES17_IbLb0EEEEDaS13_S14_EUlS13_E_NS1_11comp_targetILNS1_3genE0ELNS1_11target_archE4294967295ELNS1_3gpuE0ELNS1_3repE0EEENS1_30default_config_static_selectorELNS0_4arch9wavefront6targetE0EEEvT1_.num_agpr, 0
	.set _ZN7rocprim17ROCPRIM_400000_NS6detail17trampoline_kernelINS0_14default_configENS1_29reduce_by_key_config_selectorIiiN6thrust23THRUST_200600_302600_NS4plusIiEEEEZZNS1_33reduce_by_key_impl_wrapped_configILNS1_25lookback_scan_determinismE0ES3_S9_NS6_18transform_iteratorI25linear_index_to_row_indexIiENS6_17counting_iteratorIiNS6_11use_defaultESG_SG_EESG_SG_EENS6_6detail15normal_iteratorINS6_10device_ptrIiEEEESN_SN_PmS8_NS6_8equal_toIiEEEE10hipError_tPvRmT2_T3_mT4_T5_T6_T7_T8_P12ihipStream_tbENKUlT_T0_E_clISt17integral_constantIbLb1EES17_IbLb0EEEEDaS13_S14_EUlS13_E_NS1_11comp_targetILNS1_3genE0ELNS1_11target_archE4294967295ELNS1_3gpuE0ELNS1_3repE0EEENS1_30default_config_static_selectorELNS0_4arch9wavefront6targetE0EEEvT1_.numbered_sgpr, 0
	.set _ZN7rocprim17ROCPRIM_400000_NS6detail17trampoline_kernelINS0_14default_configENS1_29reduce_by_key_config_selectorIiiN6thrust23THRUST_200600_302600_NS4plusIiEEEEZZNS1_33reduce_by_key_impl_wrapped_configILNS1_25lookback_scan_determinismE0ES3_S9_NS6_18transform_iteratorI25linear_index_to_row_indexIiENS6_17counting_iteratorIiNS6_11use_defaultESG_SG_EESG_SG_EENS6_6detail15normal_iteratorINS6_10device_ptrIiEEEESN_SN_PmS8_NS6_8equal_toIiEEEE10hipError_tPvRmT2_T3_mT4_T5_T6_T7_T8_P12ihipStream_tbENKUlT_T0_E_clISt17integral_constantIbLb1EES17_IbLb0EEEEDaS13_S14_EUlS13_E_NS1_11comp_targetILNS1_3genE0ELNS1_11target_archE4294967295ELNS1_3gpuE0ELNS1_3repE0EEENS1_30default_config_static_selectorELNS0_4arch9wavefront6targetE0EEEvT1_.num_named_barrier, 0
	.set _ZN7rocprim17ROCPRIM_400000_NS6detail17trampoline_kernelINS0_14default_configENS1_29reduce_by_key_config_selectorIiiN6thrust23THRUST_200600_302600_NS4plusIiEEEEZZNS1_33reduce_by_key_impl_wrapped_configILNS1_25lookback_scan_determinismE0ES3_S9_NS6_18transform_iteratorI25linear_index_to_row_indexIiENS6_17counting_iteratorIiNS6_11use_defaultESG_SG_EESG_SG_EENS6_6detail15normal_iteratorINS6_10device_ptrIiEEEESN_SN_PmS8_NS6_8equal_toIiEEEE10hipError_tPvRmT2_T3_mT4_T5_T6_T7_T8_P12ihipStream_tbENKUlT_T0_E_clISt17integral_constantIbLb1EES17_IbLb0EEEEDaS13_S14_EUlS13_E_NS1_11comp_targetILNS1_3genE0ELNS1_11target_archE4294967295ELNS1_3gpuE0ELNS1_3repE0EEENS1_30default_config_static_selectorELNS0_4arch9wavefront6targetE0EEEvT1_.private_seg_size, 0
	.set _ZN7rocprim17ROCPRIM_400000_NS6detail17trampoline_kernelINS0_14default_configENS1_29reduce_by_key_config_selectorIiiN6thrust23THRUST_200600_302600_NS4plusIiEEEEZZNS1_33reduce_by_key_impl_wrapped_configILNS1_25lookback_scan_determinismE0ES3_S9_NS6_18transform_iteratorI25linear_index_to_row_indexIiENS6_17counting_iteratorIiNS6_11use_defaultESG_SG_EESG_SG_EENS6_6detail15normal_iteratorINS6_10device_ptrIiEEEESN_SN_PmS8_NS6_8equal_toIiEEEE10hipError_tPvRmT2_T3_mT4_T5_T6_T7_T8_P12ihipStream_tbENKUlT_T0_E_clISt17integral_constantIbLb1EES17_IbLb0EEEEDaS13_S14_EUlS13_E_NS1_11comp_targetILNS1_3genE0ELNS1_11target_archE4294967295ELNS1_3gpuE0ELNS1_3repE0EEENS1_30default_config_static_selectorELNS0_4arch9wavefront6targetE0EEEvT1_.uses_vcc, 0
	.set _ZN7rocprim17ROCPRIM_400000_NS6detail17trampoline_kernelINS0_14default_configENS1_29reduce_by_key_config_selectorIiiN6thrust23THRUST_200600_302600_NS4plusIiEEEEZZNS1_33reduce_by_key_impl_wrapped_configILNS1_25lookback_scan_determinismE0ES3_S9_NS6_18transform_iteratorI25linear_index_to_row_indexIiENS6_17counting_iteratorIiNS6_11use_defaultESG_SG_EESG_SG_EENS6_6detail15normal_iteratorINS6_10device_ptrIiEEEESN_SN_PmS8_NS6_8equal_toIiEEEE10hipError_tPvRmT2_T3_mT4_T5_T6_T7_T8_P12ihipStream_tbENKUlT_T0_E_clISt17integral_constantIbLb1EES17_IbLb0EEEEDaS13_S14_EUlS13_E_NS1_11comp_targetILNS1_3genE0ELNS1_11target_archE4294967295ELNS1_3gpuE0ELNS1_3repE0EEENS1_30default_config_static_selectorELNS0_4arch9wavefront6targetE0EEEvT1_.uses_flat_scratch, 0
	.set _ZN7rocprim17ROCPRIM_400000_NS6detail17trampoline_kernelINS0_14default_configENS1_29reduce_by_key_config_selectorIiiN6thrust23THRUST_200600_302600_NS4plusIiEEEEZZNS1_33reduce_by_key_impl_wrapped_configILNS1_25lookback_scan_determinismE0ES3_S9_NS6_18transform_iteratorI25linear_index_to_row_indexIiENS6_17counting_iteratorIiNS6_11use_defaultESG_SG_EESG_SG_EENS6_6detail15normal_iteratorINS6_10device_ptrIiEEEESN_SN_PmS8_NS6_8equal_toIiEEEE10hipError_tPvRmT2_T3_mT4_T5_T6_T7_T8_P12ihipStream_tbENKUlT_T0_E_clISt17integral_constantIbLb1EES17_IbLb0EEEEDaS13_S14_EUlS13_E_NS1_11comp_targetILNS1_3genE0ELNS1_11target_archE4294967295ELNS1_3gpuE0ELNS1_3repE0EEENS1_30default_config_static_selectorELNS0_4arch9wavefront6targetE0EEEvT1_.has_dyn_sized_stack, 0
	.set _ZN7rocprim17ROCPRIM_400000_NS6detail17trampoline_kernelINS0_14default_configENS1_29reduce_by_key_config_selectorIiiN6thrust23THRUST_200600_302600_NS4plusIiEEEEZZNS1_33reduce_by_key_impl_wrapped_configILNS1_25lookback_scan_determinismE0ES3_S9_NS6_18transform_iteratorI25linear_index_to_row_indexIiENS6_17counting_iteratorIiNS6_11use_defaultESG_SG_EESG_SG_EENS6_6detail15normal_iteratorINS6_10device_ptrIiEEEESN_SN_PmS8_NS6_8equal_toIiEEEE10hipError_tPvRmT2_T3_mT4_T5_T6_T7_T8_P12ihipStream_tbENKUlT_T0_E_clISt17integral_constantIbLb1EES17_IbLb0EEEEDaS13_S14_EUlS13_E_NS1_11comp_targetILNS1_3genE0ELNS1_11target_archE4294967295ELNS1_3gpuE0ELNS1_3repE0EEENS1_30default_config_static_selectorELNS0_4arch9wavefront6targetE0EEEvT1_.has_recursion, 0
	.set _ZN7rocprim17ROCPRIM_400000_NS6detail17trampoline_kernelINS0_14default_configENS1_29reduce_by_key_config_selectorIiiN6thrust23THRUST_200600_302600_NS4plusIiEEEEZZNS1_33reduce_by_key_impl_wrapped_configILNS1_25lookback_scan_determinismE0ES3_S9_NS6_18transform_iteratorI25linear_index_to_row_indexIiENS6_17counting_iteratorIiNS6_11use_defaultESG_SG_EESG_SG_EENS6_6detail15normal_iteratorINS6_10device_ptrIiEEEESN_SN_PmS8_NS6_8equal_toIiEEEE10hipError_tPvRmT2_T3_mT4_T5_T6_T7_T8_P12ihipStream_tbENKUlT_T0_E_clISt17integral_constantIbLb1EES17_IbLb0EEEEDaS13_S14_EUlS13_E_NS1_11comp_targetILNS1_3genE0ELNS1_11target_archE4294967295ELNS1_3gpuE0ELNS1_3repE0EEENS1_30default_config_static_selectorELNS0_4arch9wavefront6targetE0EEEvT1_.has_indirect_call, 0
	.section	.AMDGPU.csdata,"",@progbits
; Kernel info:
; codeLenInByte = 0
; TotalNumSgprs: 0
; NumVgprs: 0
; ScratchSize: 0
; MemoryBound: 0
; FloatMode: 240
; IeeeMode: 1
; LDSByteSize: 0 bytes/workgroup (compile time only)
; SGPRBlocks: 0
; VGPRBlocks: 0
; NumSGPRsForWavesPerEU: 1
; NumVGPRsForWavesPerEU: 1
; Occupancy: 16
; WaveLimiterHint : 0
; COMPUTE_PGM_RSRC2:SCRATCH_EN: 0
; COMPUTE_PGM_RSRC2:USER_SGPR: 6
; COMPUTE_PGM_RSRC2:TRAP_HANDLER: 0
; COMPUTE_PGM_RSRC2:TGID_X_EN: 1
; COMPUTE_PGM_RSRC2:TGID_Y_EN: 0
; COMPUTE_PGM_RSRC2:TGID_Z_EN: 0
; COMPUTE_PGM_RSRC2:TIDIG_COMP_CNT: 0
	.section	.text._ZN7rocprim17ROCPRIM_400000_NS6detail17trampoline_kernelINS0_14default_configENS1_29reduce_by_key_config_selectorIiiN6thrust23THRUST_200600_302600_NS4plusIiEEEEZZNS1_33reduce_by_key_impl_wrapped_configILNS1_25lookback_scan_determinismE0ES3_S9_NS6_18transform_iteratorI25linear_index_to_row_indexIiENS6_17counting_iteratorIiNS6_11use_defaultESG_SG_EESG_SG_EENS6_6detail15normal_iteratorINS6_10device_ptrIiEEEESN_SN_PmS8_NS6_8equal_toIiEEEE10hipError_tPvRmT2_T3_mT4_T5_T6_T7_T8_P12ihipStream_tbENKUlT_T0_E_clISt17integral_constantIbLb1EES17_IbLb0EEEEDaS13_S14_EUlS13_E_NS1_11comp_targetILNS1_3genE5ELNS1_11target_archE942ELNS1_3gpuE9ELNS1_3repE0EEENS1_30default_config_static_selectorELNS0_4arch9wavefront6targetE0EEEvT1_,"axG",@progbits,_ZN7rocprim17ROCPRIM_400000_NS6detail17trampoline_kernelINS0_14default_configENS1_29reduce_by_key_config_selectorIiiN6thrust23THRUST_200600_302600_NS4plusIiEEEEZZNS1_33reduce_by_key_impl_wrapped_configILNS1_25lookback_scan_determinismE0ES3_S9_NS6_18transform_iteratorI25linear_index_to_row_indexIiENS6_17counting_iteratorIiNS6_11use_defaultESG_SG_EESG_SG_EENS6_6detail15normal_iteratorINS6_10device_ptrIiEEEESN_SN_PmS8_NS6_8equal_toIiEEEE10hipError_tPvRmT2_T3_mT4_T5_T6_T7_T8_P12ihipStream_tbENKUlT_T0_E_clISt17integral_constantIbLb1EES17_IbLb0EEEEDaS13_S14_EUlS13_E_NS1_11comp_targetILNS1_3genE5ELNS1_11target_archE942ELNS1_3gpuE9ELNS1_3repE0EEENS1_30default_config_static_selectorELNS0_4arch9wavefront6targetE0EEEvT1_,comdat
	.protected	_ZN7rocprim17ROCPRIM_400000_NS6detail17trampoline_kernelINS0_14default_configENS1_29reduce_by_key_config_selectorIiiN6thrust23THRUST_200600_302600_NS4plusIiEEEEZZNS1_33reduce_by_key_impl_wrapped_configILNS1_25lookback_scan_determinismE0ES3_S9_NS6_18transform_iteratorI25linear_index_to_row_indexIiENS6_17counting_iteratorIiNS6_11use_defaultESG_SG_EESG_SG_EENS6_6detail15normal_iteratorINS6_10device_ptrIiEEEESN_SN_PmS8_NS6_8equal_toIiEEEE10hipError_tPvRmT2_T3_mT4_T5_T6_T7_T8_P12ihipStream_tbENKUlT_T0_E_clISt17integral_constantIbLb1EES17_IbLb0EEEEDaS13_S14_EUlS13_E_NS1_11comp_targetILNS1_3genE5ELNS1_11target_archE942ELNS1_3gpuE9ELNS1_3repE0EEENS1_30default_config_static_selectorELNS0_4arch9wavefront6targetE0EEEvT1_ ; -- Begin function _ZN7rocprim17ROCPRIM_400000_NS6detail17trampoline_kernelINS0_14default_configENS1_29reduce_by_key_config_selectorIiiN6thrust23THRUST_200600_302600_NS4plusIiEEEEZZNS1_33reduce_by_key_impl_wrapped_configILNS1_25lookback_scan_determinismE0ES3_S9_NS6_18transform_iteratorI25linear_index_to_row_indexIiENS6_17counting_iteratorIiNS6_11use_defaultESG_SG_EESG_SG_EENS6_6detail15normal_iteratorINS6_10device_ptrIiEEEESN_SN_PmS8_NS6_8equal_toIiEEEE10hipError_tPvRmT2_T3_mT4_T5_T6_T7_T8_P12ihipStream_tbENKUlT_T0_E_clISt17integral_constantIbLb1EES17_IbLb0EEEEDaS13_S14_EUlS13_E_NS1_11comp_targetILNS1_3genE5ELNS1_11target_archE942ELNS1_3gpuE9ELNS1_3repE0EEENS1_30default_config_static_selectorELNS0_4arch9wavefront6targetE0EEEvT1_
	.globl	_ZN7rocprim17ROCPRIM_400000_NS6detail17trampoline_kernelINS0_14default_configENS1_29reduce_by_key_config_selectorIiiN6thrust23THRUST_200600_302600_NS4plusIiEEEEZZNS1_33reduce_by_key_impl_wrapped_configILNS1_25lookback_scan_determinismE0ES3_S9_NS6_18transform_iteratorI25linear_index_to_row_indexIiENS6_17counting_iteratorIiNS6_11use_defaultESG_SG_EESG_SG_EENS6_6detail15normal_iteratorINS6_10device_ptrIiEEEESN_SN_PmS8_NS6_8equal_toIiEEEE10hipError_tPvRmT2_T3_mT4_T5_T6_T7_T8_P12ihipStream_tbENKUlT_T0_E_clISt17integral_constantIbLb1EES17_IbLb0EEEEDaS13_S14_EUlS13_E_NS1_11comp_targetILNS1_3genE5ELNS1_11target_archE942ELNS1_3gpuE9ELNS1_3repE0EEENS1_30default_config_static_selectorELNS0_4arch9wavefront6targetE0EEEvT1_
	.p2align	8
	.type	_ZN7rocprim17ROCPRIM_400000_NS6detail17trampoline_kernelINS0_14default_configENS1_29reduce_by_key_config_selectorIiiN6thrust23THRUST_200600_302600_NS4plusIiEEEEZZNS1_33reduce_by_key_impl_wrapped_configILNS1_25lookback_scan_determinismE0ES3_S9_NS6_18transform_iteratorI25linear_index_to_row_indexIiENS6_17counting_iteratorIiNS6_11use_defaultESG_SG_EESG_SG_EENS6_6detail15normal_iteratorINS6_10device_ptrIiEEEESN_SN_PmS8_NS6_8equal_toIiEEEE10hipError_tPvRmT2_T3_mT4_T5_T6_T7_T8_P12ihipStream_tbENKUlT_T0_E_clISt17integral_constantIbLb1EES17_IbLb0EEEEDaS13_S14_EUlS13_E_NS1_11comp_targetILNS1_3genE5ELNS1_11target_archE942ELNS1_3gpuE9ELNS1_3repE0EEENS1_30default_config_static_selectorELNS0_4arch9wavefront6targetE0EEEvT1_,@function
_ZN7rocprim17ROCPRIM_400000_NS6detail17trampoline_kernelINS0_14default_configENS1_29reduce_by_key_config_selectorIiiN6thrust23THRUST_200600_302600_NS4plusIiEEEEZZNS1_33reduce_by_key_impl_wrapped_configILNS1_25lookback_scan_determinismE0ES3_S9_NS6_18transform_iteratorI25linear_index_to_row_indexIiENS6_17counting_iteratorIiNS6_11use_defaultESG_SG_EESG_SG_EENS6_6detail15normal_iteratorINS6_10device_ptrIiEEEESN_SN_PmS8_NS6_8equal_toIiEEEE10hipError_tPvRmT2_T3_mT4_T5_T6_T7_T8_P12ihipStream_tbENKUlT_T0_E_clISt17integral_constantIbLb1EES17_IbLb0EEEEDaS13_S14_EUlS13_E_NS1_11comp_targetILNS1_3genE5ELNS1_11target_archE942ELNS1_3gpuE9ELNS1_3repE0EEENS1_30default_config_static_selectorELNS0_4arch9wavefront6targetE0EEEvT1_: ; @_ZN7rocprim17ROCPRIM_400000_NS6detail17trampoline_kernelINS0_14default_configENS1_29reduce_by_key_config_selectorIiiN6thrust23THRUST_200600_302600_NS4plusIiEEEEZZNS1_33reduce_by_key_impl_wrapped_configILNS1_25lookback_scan_determinismE0ES3_S9_NS6_18transform_iteratorI25linear_index_to_row_indexIiENS6_17counting_iteratorIiNS6_11use_defaultESG_SG_EESG_SG_EENS6_6detail15normal_iteratorINS6_10device_ptrIiEEEESN_SN_PmS8_NS6_8equal_toIiEEEE10hipError_tPvRmT2_T3_mT4_T5_T6_T7_T8_P12ihipStream_tbENKUlT_T0_E_clISt17integral_constantIbLb1EES17_IbLb0EEEEDaS13_S14_EUlS13_E_NS1_11comp_targetILNS1_3genE5ELNS1_11target_archE942ELNS1_3gpuE9ELNS1_3repE0EEENS1_30default_config_static_selectorELNS0_4arch9wavefront6targetE0EEEvT1_
; %bb.0:
	.section	.rodata,"a",@progbits
	.p2align	6, 0x0
	.amdhsa_kernel _ZN7rocprim17ROCPRIM_400000_NS6detail17trampoline_kernelINS0_14default_configENS1_29reduce_by_key_config_selectorIiiN6thrust23THRUST_200600_302600_NS4plusIiEEEEZZNS1_33reduce_by_key_impl_wrapped_configILNS1_25lookback_scan_determinismE0ES3_S9_NS6_18transform_iteratorI25linear_index_to_row_indexIiENS6_17counting_iteratorIiNS6_11use_defaultESG_SG_EESG_SG_EENS6_6detail15normal_iteratorINS6_10device_ptrIiEEEESN_SN_PmS8_NS6_8equal_toIiEEEE10hipError_tPvRmT2_T3_mT4_T5_T6_T7_T8_P12ihipStream_tbENKUlT_T0_E_clISt17integral_constantIbLb1EES17_IbLb0EEEEDaS13_S14_EUlS13_E_NS1_11comp_targetILNS1_3genE5ELNS1_11target_archE942ELNS1_3gpuE9ELNS1_3repE0EEENS1_30default_config_static_selectorELNS0_4arch9wavefront6targetE0EEEvT1_
		.amdhsa_group_segment_fixed_size 0
		.amdhsa_private_segment_fixed_size 0
		.amdhsa_kernarg_size 120
		.amdhsa_user_sgpr_count 6
		.amdhsa_user_sgpr_private_segment_buffer 1
		.amdhsa_user_sgpr_dispatch_ptr 0
		.amdhsa_user_sgpr_queue_ptr 0
		.amdhsa_user_sgpr_kernarg_segment_ptr 1
		.amdhsa_user_sgpr_dispatch_id 0
		.amdhsa_user_sgpr_flat_scratch_init 0
		.amdhsa_user_sgpr_private_segment_size 0
		.amdhsa_wavefront_size32 1
		.amdhsa_uses_dynamic_stack 0
		.amdhsa_system_sgpr_private_segment_wavefront_offset 0
		.amdhsa_system_sgpr_workgroup_id_x 1
		.amdhsa_system_sgpr_workgroup_id_y 0
		.amdhsa_system_sgpr_workgroup_id_z 0
		.amdhsa_system_sgpr_workgroup_info 0
		.amdhsa_system_vgpr_workitem_id 0
		.amdhsa_next_free_vgpr 1
		.amdhsa_next_free_sgpr 1
		.amdhsa_reserve_vcc 0
		.amdhsa_reserve_flat_scratch 0
		.amdhsa_float_round_mode_32 0
		.amdhsa_float_round_mode_16_64 0
		.amdhsa_float_denorm_mode_32 3
		.amdhsa_float_denorm_mode_16_64 3
		.amdhsa_dx10_clamp 1
		.amdhsa_ieee_mode 1
		.amdhsa_fp16_overflow 0
		.amdhsa_workgroup_processor_mode 1
		.amdhsa_memory_ordered 1
		.amdhsa_forward_progress 1
		.amdhsa_shared_vgpr_count 0
		.amdhsa_exception_fp_ieee_invalid_op 0
		.amdhsa_exception_fp_denorm_src 0
		.amdhsa_exception_fp_ieee_div_zero 0
		.amdhsa_exception_fp_ieee_overflow 0
		.amdhsa_exception_fp_ieee_underflow 0
		.amdhsa_exception_fp_ieee_inexact 0
		.amdhsa_exception_int_div_zero 0
	.end_amdhsa_kernel
	.section	.text._ZN7rocprim17ROCPRIM_400000_NS6detail17trampoline_kernelINS0_14default_configENS1_29reduce_by_key_config_selectorIiiN6thrust23THRUST_200600_302600_NS4plusIiEEEEZZNS1_33reduce_by_key_impl_wrapped_configILNS1_25lookback_scan_determinismE0ES3_S9_NS6_18transform_iteratorI25linear_index_to_row_indexIiENS6_17counting_iteratorIiNS6_11use_defaultESG_SG_EESG_SG_EENS6_6detail15normal_iteratorINS6_10device_ptrIiEEEESN_SN_PmS8_NS6_8equal_toIiEEEE10hipError_tPvRmT2_T3_mT4_T5_T6_T7_T8_P12ihipStream_tbENKUlT_T0_E_clISt17integral_constantIbLb1EES17_IbLb0EEEEDaS13_S14_EUlS13_E_NS1_11comp_targetILNS1_3genE5ELNS1_11target_archE942ELNS1_3gpuE9ELNS1_3repE0EEENS1_30default_config_static_selectorELNS0_4arch9wavefront6targetE0EEEvT1_,"axG",@progbits,_ZN7rocprim17ROCPRIM_400000_NS6detail17trampoline_kernelINS0_14default_configENS1_29reduce_by_key_config_selectorIiiN6thrust23THRUST_200600_302600_NS4plusIiEEEEZZNS1_33reduce_by_key_impl_wrapped_configILNS1_25lookback_scan_determinismE0ES3_S9_NS6_18transform_iteratorI25linear_index_to_row_indexIiENS6_17counting_iteratorIiNS6_11use_defaultESG_SG_EESG_SG_EENS6_6detail15normal_iteratorINS6_10device_ptrIiEEEESN_SN_PmS8_NS6_8equal_toIiEEEE10hipError_tPvRmT2_T3_mT4_T5_T6_T7_T8_P12ihipStream_tbENKUlT_T0_E_clISt17integral_constantIbLb1EES17_IbLb0EEEEDaS13_S14_EUlS13_E_NS1_11comp_targetILNS1_3genE5ELNS1_11target_archE942ELNS1_3gpuE9ELNS1_3repE0EEENS1_30default_config_static_selectorELNS0_4arch9wavefront6targetE0EEEvT1_,comdat
.Lfunc_end32:
	.size	_ZN7rocprim17ROCPRIM_400000_NS6detail17trampoline_kernelINS0_14default_configENS1_29reduce_by_key_config_selectorIiiN6thrust23THRUST_200600_302600_NS4plusIiEEEEZZNS1_33reduce_by_key_impl_wrapped_configILNS1_25lookback_scan_determinismE0ES3_S9_NS6_18transform_iteratorI25linear_index_to_row_indexIiENS6_17counting_iteratorIiNS6_11use_defaultESG_SG_EESG_SG_EENS6_6detail15normal_iteratorINS6_10device_ptrIiEEEESN_SN_PmS8_NS6_8equal_toIiEEEE10hipError_tPvRmT2_T3_mT4_T5_T6_T7_T8_P12ihipStream_tbENKUlT_T0_E_clISt17integral_constantIbLb1EES17_IbLb0EEEEDaS13_S14_EUlS13_E_NS1_11comp_targetILNS1_3genE5ELNS1_11target_archE942ELNS1_3gpuE9ELNS1_3repE0EEENS1_30default_config_static_selectorELNS0_4arch9wavefront6targetE0EEEvT1_, .Lfunc_end32-_ZN7rocprim17ROCPRIM_400000_NS6detail17trampoline_kernelINS0_14default_configENS1_29reduce_by_key_config_selectorIiiN6thrust23THRUST_200600_302600_NS4plusIiEEEEZZNS1_33reduce_by_key_impl_wrapped_configILNS1_25lookback_scan_determinismE0ES3_S9_NS6_18transform_iteratorI25linear_index_to_row_indexIiENS6_17counting_iteratorIiNS6_11use_defaultESG_SG_EESG_SG_EENS6_6detail15normal_iteratorINS6_10device_ptrIiEEEESN_SN_PmS8_NS6_8equal_toIiEEEE10hipError_tPvRmT2_T3_mT4_T5_T6_T7_T8_P12ihipStream_tbENKUlT_T0_E_clISt17integral_constantIbLb1EES17_IbLb0EEEEDaS13_S14_EUlS13_E_NS1_11comp_targetILNS1_3genE5ELNS1_11target_archE942ELNS1_3gpuE9ELNS1_3repE0EEENS1_30default_config_static_selectorELNS0_4arch9wavefront6targetE0EEEvT1_
                                        ; -- End function
	.set _ZN7rocprim17ROCPRIM_400000_NS6detail17trampoline_kernelINS0_14default_configENS1_29reduce_by_key_config_selectorIiiN6thrust23THRUST_200600_302600_NS4plusIiEEEEZZNS1_33reduce_by_key_impl_wrapped_configILNS1_25lookback_scan_determinismE0ES3_S9_NS6_18transform_iteratorI25linear_index_to_row_indexIiENS6_17counting_iteratorIiNS6_11use_defaultESG_SG_EESG_SG_EENS6_6detail15normal_iteratorINS6_10device_ptrIiEEEESN_SN_PmS8_NS6_8equal_toIiEEEE10hipError_tPvRmT2_T3_mT4_T5_T6_T7_T8_P12ihipStream_tbENKUlT_T0_E_clISt17integral_constantIbLb1EES17_IbLb0EEEEDaS13_S14_EUlS13_E_NS1_11comp_targetILNS1_3genE5ELNS1_11target_archE942ELNS1_3gpuE9ELNS1_3repE0EEENS1_30default_config_static_selectorELNS0_4arch9wavefront6targetE0EEEvT1_.num_vgpr, 0
	.set _ZN7rocprim17ROCPRIM_400000_NS6detail17trampoline_kernelINS0_14default_configENS1_29reduce_by_key_config_selectorIiiN6thrust23THRUST_200600_302600_NS4plusIiEEEEZZNS1_33reduce_by_key_impl_wrapped_configILNS1_25lookback_scan_determinismE0ES3_S9_NS6_18transform_iteratorI25linear_index_to_row_indexIiENS6_17counting_iteratorIiNS6_11use_defaultESG_SG_EESG_SG_EENS6_6detail15normal_iteratorINS6_10device_ptrIiEEEESN_SN_PmS8_NS6_8equal_toIiEEEE10hipError_tPvRmT2_T3_mT4_T5_T6_T7_T8_P12ihipStream_tbENKUlT_T0_E_clISt17integral_constantIbLb1EES17_IbLb0EEEEDaS13_S14_EUlS13_E_NS1_11comp_targetILNS1_3genE5ELNS1_11target_archE942ELNS1_3gpuE9ELNS1_3repE0EEENS1_30default_config_static_selectorELNS0_4arch9wavefront6targetE0EEEvT1_.num_agpr, 0
	.set _ZN7rocprim17ROCPRIM_400000_NS6detail17trampoline_kernelINS0_14default_configENS1_29reduce_by_key_config_selectorIiiN6thrust23THRUST_200600_302600_NS4plusIiEEEEZZNS1_33reduce_by_key_impl_wrapped_configILNS1_25lookback_scan_determinismE0ES3_S9_NS6_18transform_iteratorI25linear_index_to_row_indexIiENS6_17counting_iteratorIiNS6_11use_defaultESG_SG_EESG_SG_EENS6_6detail15normal_iteratorINS6_10device_ptrIiEEEESN_SN_PmS8_NS6_8equal_toIiEEEE10hipError_tPvRmT2_T3_mT4_T5_T6_T7_T8_P12ihipStream_tbENKUlT_T0_E_clISt17integral_constantIbLb1EES17_IbLb0EEEEDaS13_S14_EUlS13_E_NS1_11comp_targetILNS1_3genE5ELNS1_11target_archE942ELNS1_3gpuE9ELNS1_3repE0EEENS1_30default_config_static_selectorELNS0_4arch9wavefront6targetE0EEEvT1_.numbered_sgpr, 0
	.set _ZN7rocprim17ROCPRIM_400000_NS6detail17trampoline_kernelINS0_14default_configENS1_29reduce_by_key_config_selectorIiiN6thrust23THRUST_200600_302600_NS4plusIiEEEEZZNS1_33reduce_by_key_impl_wrapped_configILNS1_25lookback_scan_determinismE0ES3_S9_NS6_18transform_iteratorI25linear_index_to_row_indexIiENS6_17counting_iteratorIiNS6_11use_defaultESG_SG_EESG_SG_EENS6_6detail15normal_iteratorINS6_10device_ptrIiEEEESN_SN_PmS8_NS6_8equal_toIiEEEE10hipError_tPvRmT2_T3_mT4_T5_T6_T7_T8_P12ihipStream_tbENKUlT_T0_E_clISt17integral_constantIbLb1EES17_IbLb0EEEEDaS13_S14_EUlS13_E_NS1_11comp_targetILNS1_3genE5ELNS1_11target_archE942ELNS1_3gpuE9ELNS1_3repE0EEENS1_30default_config_static_selectorELNS0_4arch9wavefront6targetE0EEEvT1_.num_named_barrier, 0
	.set _ZN7rocprim17ROCPRIM_400000_NS6detail17trampoline_kernelINS0_14default_configENS1_29reduce_by_key_config_selectorIiiN6thrust23THRUST_200600_302600_NS4plusIiEEEEZZNS1_33reduce_by_key_impl_wrapped_configILNS1_25lookback_scan_determinismE0ES3_S9_NS6_18transform_iteratorI25linear_index_to_row_indexIiENS6_17counting_iteratorIiNS6_11use_defaultESG_SG_EESG_SG_EENS6_6detail15normal_iteratorINS6_10device_ptrIiEEEESN_SN_PmS8_NS6_8equal_toIiEEEE10hipError_tPvRmT2_T3_mT4_T5_T6_T7_T8_P12ihipStream_tbENKUlT_T0_E_clISt17integral_constantIbLb1EES17_IbLb0EEEEDaS13_S14_EUlS13_E_NS1_11comp_targetILNS1_3genE5ELNS1_11target_archE942ELNS1_3gpuE9ELNS1_3repE0EEENS1_30default_config_static_selectorELNS0_4arch9wavefront6targetE0EEEvT1_.private_seg_size, 0
	.set _ZN7rocprim17ROCPRIM_400000_NS6detail17trampoline_kernelINS0_14default_configENS1_29reduce_by_key_config_selectorIiiN6thrust23THRUST_200600_302600_NS4plusIiEEEEZZNS1_33reduce_by_key_impl_wrapped_configILNS1_25lookback_scan_determinismE0ES3_S9_NS6_18transform_iteratorI25linear_index_to_row_indexIiENS6_17counting_iteratorIiNS6_11use_defaultESG_SG_EESG_SG_EENS6_6detail15normal_iteratorINS6_10device_ptrIiEEEESN_SN_PmS8_NS6_8equal_toIiEEEE10hipError_tPvRmT2_T3_mT4_T5_T6_T7_T8_P12ihipStream_tbENKUlT_T0_E_clISt17integral_constantIbLb1EES17_IbLb0EEEEDaS13_S14_EUlS13_E_NS1_11comp_targetILNS1_3genE5ELNS1_11target_archE942ELNS1_3gpuE9ELNS1_3repE0EEENS1_30default_config_static_selectorELNS0_4arch9wavefront6targetE0EEEvT1_.uses_vcc, 0
	.set _ZN7rocprim17ROCPRIM_400000_NS6detail17trampoline_kernelINS0_14default_configENS1_29reduce_by_key_config_selectorIiiN6thrust23THRUST_200600_302600_NS4plusIiEEEEZZNS1_33reduce_by_key_impl_wrapped_configILNS1_25lookback_scan_determinismE0ES3_S9_NS6_18transform_iteratorI25linear_index_to_row_indexIiENS6_17counting_iteratorIiNS6_11use_defaultESG_SG_EESG_SG_EENS6_6detail15normal_iteratorINS6_10device_ptrIiEEEESN_SN_PmS8_NS6_8equal_toIiEEEE10hipError_tPvRmT2_T3_mT4_T5_T6_T7_T8_P12ihipStream_tbENKUlT_T0_E_clISt17integral_constantIbLb1EES17_IbLb0EEEEDaS13_S14_EUlS13_E_NS1_11comp_targetILNS1_3genE5ELNS1_11target_archE942ELNS1_3gpuE9ELNS1_3repE0EEENS1_30default_config_static_selectorELNS0_4arch9wavefront6targetE0EEEvT1_.uses_flat_scratch, 0
	.set _ZN7rocprim17ROCPRIM_400000_NS6detail17trampoline_kernelINS0_14default_configENS1_29reduce_by_key_config_selectorIiiN6thrust23THRUST_200600_302600_NS4plusIiEEEEZZNS1_33reduce_by_key_impl_wrapped_configILNS1_25lookback_scan_determinismE0ES3_S9_NS6_18transform_iteratorI25linear_index_to_row_indexIiENS6_17counting_iteratorIiNS6_11use_defaultESG_SG_EESG_SG_EENS6_6detail15normal_iteratorINS6_10device_ptrIiEEEESN_SN_PmS8_NS6_8equal_toIiEEEE10hipError_tPvRmT2_T3_mT4_T5_T6_T7_T8_P12ihipStream_tbENKUlT_T0_E_clISt17integral_constantIbLb1EES17_IbLb0EEEEDaS13_S14_EUlS13_E_NS1_11comp_targetILNS1_3genE5ELNS1_11target_archE942ELNS1_3gpuE9ELNS1_3repE0EEENS1_30default_config_static_selectorELNS0_4arch9wavefront6targetE0EEEvT1_.has_dyn_sized_stack, 0
	.set _ZN7rocprim17ROCPRIM_400000_NS6detail17trampoline_kernelINS0_14default_configENS1_29reduce_by_key_config_selectorIiiN6thrust23THRUST_200600_302600_NS4plusIiEEEEZZNS1_33reduce_by_key_impl_wrapped_configILNS1_25lookback_scan_determinismE0ES3_S9_NS6_18transform_iteratorI25linear_index_to_row_indexIiENS6_17counting_iteratorIiNS6_11use_defaultESG_SG_EESG_SG_EENS6_6detail15normal_iteratorINS6_10device_ptrIiEEEESN_SN_PmS8_NS6_8equal_toIiEEEE10hipError_tPvRmT2_T3_mT4_T5_T6_T7_T8_P12ihipStream_tbENKUlT_T0_E_clISt17integral_constantIbLb1EES17_IbLb0EEEEDaS13_S14_EUlS13_E_NS1_11comp_targetILNS1_3genE5ELNS1_11target_archE942ELNS1_3gpuE9ELNS1_3repE0EEENS1_30default_config_static_selectorELNS0_4arch9wavefront6targetE0EEEvT1_.has_recursion, 0
	.set _ZN7rocprim17ROCPRIM_400000_NS6detail17trampoline_kernelINS0_14default_configENS1_29reduce_by_key_config_selectorIiiN6thrust23THRUST_200600_302600_NS4plusIiEEEEZZNS1_33reduce_by_key_impl_wrapped_configILNS1_25lookback_scan_determinismE0ES3_S9_NS6_18transform_iteratorI25linear_index_to_row_indexIiENS6_17counting_iteratorIiNS6_11use_defaultESG_SG_EESG_SG_EENS6_6detail15normal_iteratorINS6_10device_ptrIiEEEESN_SN_PmS8_NS6_8equal_toIiEEEE10hipError_tPvRmT2_T3_mT4_T5_T6_T7_T8_P12ihipStream_tbENKUlT_T0_E_clISt17integral_constantIbLb1EES17_IbLb0EEEEDaS13_S14_EUlS13_E_NS1_11comp_targetILNS1_3genE5ELNS1_11target_archE942ELNS1_3gpuE9ELNS1_3repE0EEENS1_30default_config_static_selectorELNS0_4arch9wavefront6targetE0EEEvT1_.has_indirect_call, 0
	.section	.AMDGPU.csdata,"",@progbits
; Kernel info:
; codeLenInByte = 0
; TotalNumSgprs: 0
; NumVgprs: 0
; ScratchSize: 0
; MemoryBound: 0
; FloatMode: 240
; IeeeMode: 1
; LDSByteSize: 0 bytes/workgroup (compile time only)
; SGPRBlocks: 0
; VGPRBlocks: 0
; NumSGPRsForWavesPerEU: 1
; NumVGPRsForWavesPerEU: 1
; Occupancy: 16
; WaveLimiterHint : 0
; COMPUTE_PGM_RSRC2:SCRATCH_EN: 0
; COMPUTE_PGM_RSRC2:USER_SGPR: 6
; COMPUTE_PGM_RSRC2:TRAP_HANDLER: 0
; COMPUTE_PGM_RSRC2:TGID_X_EN: 1
; COMPUTE_PGM_RSRC2:TGID_Y_EN: 0
; COMPUTE_PGM_RSRC2:TGID_Z_EN: 0
; COMPUTE_PGM_RSRC2:TIDIG_COMP_CNT: 0
	.section	.text._ZN7rocprim17ROCPRIM_400000_NS6detail17trampoline_kernelINS0_14default_configENS1_29reduce_by_key_config_selectorIiiN6thrust23THRUST_200600_302600_NS4plusIiEEEEZZNS1_33reduce_by_key_impl_wrapped_configILNS1_25lookback_scan_determinismE0ES3_S9_NS6_18transform_iteratorI25linear_index_to_row_indexIiENS6_17counting_iteratorIiNS6_11use_defaultESG_SG_EESG_SG_EENS6_6detail15normal_iteratorINS6_10device_ptrIiEEEESN_SN_PmS8_NS6_8equal_toIiEEEE10hipError_tPvRmT2_T3_mT4_T5_T6_T7_T8_P12ihipStream_tbENKUlT_T0_E_clISt17integral_constantIbLb1EES17_IbLb0EEEEDaS13_S14_EUlS13_E_NS1_11comp_targetILNS1_3genE4ELNS1_11target_archE910ELNS1_3gpuE8ELNS1_3repE0EEENS1_30default_config_static_selectorELNS0_4arch9wavefront6targetE0EEEvT1_,"axG",@progbits,_ZN7rocprim17ROCPRIM_400000_NS6detail17trampoline_kernelINS0_14default_configENS1_29reduce_by_key_config_selectorIiiN6thrust23THRUST_200600_302600_NS4plusIiEEEEZZNS1_33reduce_by_key_impl_wrapped_configILNS1_25lookback_scan_determinismE0ES3_S9_NS6_18transform_iteratorI25linear_index_to_row_indexIiENS6_17counting_iteratorIiNS6_11use_defaultESG_SG_EESG_SG_EENS6_6detail15normal_iteratorINS6_10device_ptrIiEEEESN_SN_PmS8_NS6_8equal_toIiEEEE10hipError_tPvRmT2_T3_mT4_T5_T6_T7_T8_P12ihipStream_tbENKUlT_T0_E_clISt17integral_constantIbLb1EES17_IbLb0EEEEDaS13_S14_EUlS13_E_NS1_11comp_targetILNS1_3genE4ELNS1_11target_archE910ELNS1_3gpuE8ELNS1_3repE0EEENS1_30default_config_static_selectorELNS0_4arch9wavefront6targetE0EEEvT1_,comdat
	.protected	_ZN7rocprim17ROCPRIM_400000_NS6detail17trampoline_kernelINS0_14default_configENS1_29reduce_by_key_config_selectorIiiN6thrust23THRUST_200600_302600_NS4plusIiEEEEZZNS1_33reduce_by_key_impl_wrapped_configILNS1_25lookback_scan_determinismE0ES3_S9_NS6_18transform_iteratorI25linear_index_to_row_indexIiENS6_17counting_iteratorIiNS6_11use_defaultESG_SG_EESG_SG_EENS6_6detail15normal_iteratorINS6_10device_ptrIiEEEESN_SN_PmS8_NS6_8equal_toIiEEEE10hipError_tPvRmT2_T3_mT4_T5_T6_T7_T8_P12ihipStream_tbENKUlT_T0_E_clISt17integral_constantIbLb1EES17_IbLb0EEEEDaS13_S14_EUlS13_E_NS1_11comp_targetILNS1_3genE4ELNS1_11target_archE910ELNS1_3gpuE8ELNS1_3repE0EEENS1_30default_config_static_selectorELNS0_4arch9wavefront6targetE0EEEvT1_ ; -- Begin function _ZN7rocprim17ROCPRIM_400000_NS6detail17trampoline_kernelINS0_14default_configENS1_29reduce_by_key_config_selectorIiiN6thrust23THRUST_200600_302600_NS4plusIiEEEEZZNS1_33reduce_by_key_impl_wrapped_configILNS1_25lookback_scan_determinismE0ES3_S9_NS6_18transform_iteratorI25linear_index_to_row_indexIiENS6_17counting_iteratorIiNS6_11use_defaultESG_SG_EESG_SG_EENS6_6detail15normal_iteratorINS6_10device_ptrIiEEEESN_SN_PmS8_NS6_8equal_toIiEEEE10hipError_tPvRmT2_T3_mT4_T5_T6_T7_T8_P12ihipStream_tbENKUlT_T0_E_clISt17integral_constantIbLb1EES17_IbLb0EEEEDaS13_S14_EUlS13_E_NS1_11comp_targetILNS1_3genE4ELNS1_11target_archE910ELNS1_3gpuE8ELNS1_3repE0EEENS1_30default_config_static_selectorELNS0_4arch9wavefront6targetE0EEEvT1_
	.globl	_ZN7rocprim17ROCPRIM_400000_NS6detail17trampoline_kernelINS0_14default_configENS1_29reduce_by_key_config_selectorIiiN6thrust23THRUST_200600_302600_NS4plusIiEEEEZZNS1_33reduce_by_key_impl_wrapped_configILNS1_25lookback_scan_determinismE0ES3_S9_NS6_18transform_iteratorI25linear_index_to_row_indexIiENS6_17counting_iteratorIiNS6_11use_defaultESG_SG_EESG_SG_EENS6_6detail15normal_iteratorINS6_10device_ptrIiEEEESN_SN_PmS8_NS6_8equal_toIiEEEE10hipError_tPvRmT2_T3_mT4_T5_T6_T7_T8_P12ihipStream_tbENKUlT_T0_E_clISt17integral_constantIbLb1EES17_IbLb0EEEEDaS13_S14_EUlS13_E_NS1_11comp_targetILNS1_3genE4ELNS1_11target_archE910ELNS1_3gpuE8ELNS1_3repE0EEENS1_30default_config_static_selectorELNS0_4arch9wavefront6targetE0EEEvT1_
	.p2align	8
	.type	_ZN7rocprim17ROCPRIM_400000_NS6detail17trampoline_kernelINS0_14default_configENS1_29reduce_by_key_config_selectorIiiN6thrust23THRUST_200600_302600_NS4plusIiEEEEZZNS1_33reduce_by_key_impl_wrapped_configILNS1_25lookback_scan_determinismE0ES3_S9_NS6_18transform_iteratorI25linear_index_to_row_indexIiENS6_17counting_iteratorIiNS6_11use_defaultESG_SG_EESG_SG_EENS6_6detail15normal_iteratorINS6_10device_ptrIiEEEESN_SN_PmS8_NS6_8equal_toIiEEEE10hipError_tPvRmT2_T3_mT4_T5_T6_T7_T8_P12ihipStream_tbENKUlT_T0_E_clISt17integral_constantIbLb1EES17_IbLb0EEEEDaS13_S14_EUlS13_E_NS1_11comp_targetILNS1_3genE4ELNS1_11target_archE910ELNS1_3gpuE8ELNS1_3repE0EEENS1_30default_config_static_selectorELNS0_4arch9wavefront6targetE0EEEvT1_,@function
_ZN7rocprim17ROCPRIM_400000_NS6detail17trampoline_kernelINS0_14default_configENS1_29reduce_by_key_config_selectorIiiN6thrust23THRUST_200600_302600_NS4plusIiEEEEZZNS1_33reduce_by_key_impl_wrapped_configILNS1_25lookback_scan_determinismE0ES3_S9_NS6_18transform_iteratorI25linear_index_to_row_indexIiENS6_17counting_iteratorIiNS6_11use_defaultESG_SG_EESG_SG_EENS6_6detail15normal_iteratorINS6_10device_ptrIiEEEESN_SN_PmS8_NS6_8equal_toIiEEEE10hipError_tPvRmT2_T3_mT4_T5_T6_T7_T8_P12ihipStream_tbENKUlT_T0_E_clISt17integral_constantIbLb1EES17_IbLb0EEEEDaS13_S14_EUlS13_E_NS1_11comp_targetILNS1_3genE4ELNS1_11target_archE910ELNS1_3gpuE8ELNS1_3repE0EEENS1_30default_config_static_selectorELNS0_4arch9wavefront6targetE0EEEvT1_: ; @_ZN7rocprim17ROCPRIM_400000_NS6detail17trampoline_kernelINS0_14default_configENS1_29reduce_by_key_config_selectorIiiN6thrust23THRUST_200600_302600_NS4plusIiEEEEZZNS1_33reduce_by_key_impl_wrapped_configILNS1_25lookback_scan_determinismE0ES3_S9_NS6_18transform_iteratorI25linear_index_to_row_indexIiENS6_17counting_iteratorIiNS6_11use_defaultESG_SG_EESG_SG_EENS6_6detail15normal_iteratorINS6_10device_ptrIiEEEESN_SN_PmS8_NS6_8equal_toIiEEEE10hipError_tPvRmT2_T3_mT4_T5_T6_T7_T8_P12ihipStream_tbENKUlT_T0_E_clISt17integral_constantIbLb1EES17_IbLb0EEEEDaS13_S14_EUlS13_E_NS1_11comp_targetILNS1_3genE4ELNS1_11target_archE910ELNS1_3gpuE8ELNS1_3repE0EEENS1_30default_config_static_selectorELNS0_4arch9wavefront6targetE0EEEvT1_
; %bb.0:
	.section	.rodata,"a",@progbits
	.p2align	6, 0x0
	.amdhsa_kernel _ZN7rocprim17ROCPRIM_400000_NS6detail17trampoline_kernelINS0_14default_configENS1_29reduce_by_key_config_selectorIiiN6thrust23THRUST_200600_302600_NS4plusIiEEEEZZNS1_33reduce_by_key_impl_wrapped_configILNS1_25lookback_scan_determinismE0ES3_S9_NS6_18transform_iteratorI25linear_index_to_row_indexIiENS6_17counting_iteratorIiNS6_11use_defaultESG_SG_EESG_SG_EENS6_6detail15normal_iteratorINS6_10device_ptrIiEEEESN_SN_PmS8_NS6_8equal_toIiEEEE10hipError_tPvRmT2_T3_mT4_T5_T6_T7_T8_P12ihipStream_tbENKUlT_T0_E_clISt17integral_constantIbLb1EES17_IbLb0EEEEDaS13_S14_EUlS13_E_NS1_11comp_targetILNS1_3genE4ELNS1_11target_archE910ELNS1_3gpuE8ELNS1_3repE0EEENS1_30default_config_static_selectorELNS0_4arch9wavefront6targetE0EEEvT1_
		.amdhsa_group_segment_fixed_size 0
		.amdhsa_private_segment_fixed_size 0
		.amdhsa_kernarg_size 120
		.amdhsa_user_sgpr_count 6
		.amdhsa_user_sgpr_private_segment_buffer 1
		.amdhsa_user_sgpr_dispatch_ptr 0
		.amdhsa_user_sgpr_queue_ptr 0
		.amdhsa_user_sgpr_kernarg_segment_ptr 1
		.amdhsa_user_sgpr_dispatch_id 0
		.amdhsa_user_sgpr_flat_scratch_init 0
		.amdhsa_user_sgpr_private_segment_size 0
		.amdhsa_wavefront_size32 1
		.amdhsa_uses_dynamic_stack 0
		.amdhsa_system_sgpr_private_segment_wavefront_offset 0
		.amdhsa_system_sgpr_workgroup_id_x 1
		.amdhsa_system_sgpr_workgroup_id_y 0
		.amdhsa_system_sgpr_workgroup_id_z 0
		.amdhsa_system_sgpr_workgroup_info 0
		.amdhsa_system_vgpr_workitem_id 0
		.amdhsa_next_free_vgpr 1
		.amdhsa_next_free_sgpr 1
		.amdhsa_reserve_vcc 0
		.amdhsa_reserve_flat_scratch 0
		.amdhsa_float_round_mode_32 0
		.amdhsa_float_round_mode_16_64 0
		.amdhsa_float_denorm_mode_32 3
		.amdhsa_float_denorm_mode_16_64 3
		.amdhsa_dx10_clamp 1
		.amdhsa_ieee_mode 1
		.amdhsa_fp16_overflow 0
		.amdhsa_workgroup_processor_mode 1
		.amdhsa_memory_ordered 1
		.amdhsa_forward_progress 1
		.amdhsa_shared_vgpr_count 0
		.amdhsa_exception_fp_ieee_invalid_op 0
		.amdhsa_exception_fp_denorm_src 0
		.amdhsa_exception_fp_ieee_div_zero 0
		.amdhsa_exception_fp_ieee_overflow 0
		.amdhsa_exception_fp_ieee_underflow 0
		.amdhsa_exception_fp_ieee_inexact 0
		.amdhsa_exception_int_div_zero 0
	.end_amdhsa_kernel
	.section	.text._ZN7rocprim17ROCPRIM_400000_NS6detail17trampoline_kernelINS0_14default_configENS1_29reduce_by_key_config_selectorIiiN6thrust23THRUST_200600_302600_NS4plusIiEEEEZZNS1_33reduce_by_key_impl_wrapped_configILNS1_25lookback_scan_determinismE0ES3_S9_NS6_18transform_iteratorI25linear_index_to_row_indexIiENS6_17counting_iteratorIiNS6_11use_defaultESG_SG_EESG_SG_EENS6_6detail15normal_iteratorINS6_10device_ptrIiEEEESN_SN_PmS8_NS6_8equal_toIiEEEE10hipError_tPvRmT2_T3_mT4_T5_T6_T7_T8_P12ihipStream_tbENKUlT_T0_E_clISt17integral_constantIbLb1EES17_IbLb0EEEEDaS13_S14_EUlS13_E_NS1_11comp_targetILNS1_3genE4ELNS1_11target_archE910ELNS1_3gpuE8ELNS1_3repE0EEENS1_30default_config_static_selectorELNS0_4arch9wavefront6targetE0EEEvT1_,"axG",@progbits,_ZN7rocprim17ROCPRIM_400000_NS6detail17trampoline_kernelINS0_14default_configENS1_29reduce_by_key_config_selectorIiiN6thrust23THRUST_200600_302600_NS4plusIiEEEEZZNS1_33reduce_by_key_impl_wrapped_configILNS1_25lookback_scan_determinismE0ES3_S9_NS6_18transform_iteratorI25linear_index_to_row_indexIiENS6_17counting_iteratorIiNS6_11use_defaultESG_SG_EESG_SG_EENS6_6detail15normal_iteratorINS6_10device_ptrIiEEEESN_SN_PmS8_NS6_8equal_toIiEEEE10hipError_tPvRmT2_T3_mT4_T5_T6_T7_T8_P12ihipStream_tbENKUlT_T0_E_clISt17integral_constantIbLb1EES17_IbLb0EEEEDaS13_S14_EUlS13_E_NS1_11comp_targetILNS1_3genE4ELNS1_11target_archE910ELNS1_3gpuE8ELNS1_3repE0EEENS1_30default_config_static_selectorELNS0_4arch9wavefront6targetE0EEEvT1_,comdat
.Lfunc_end33:
	.size	_ZN7rocprim17ROCPRIM_400000_NS6detail17trampoline_kernelINS0_14default_configENS1_29reduce_by_key_config_selectorIiiN6thrust23THRUST_200600_302600_NS4plusIiEEEEZZNS1_33reduce_by_key_impl_wrapped_configILNS1_25lookback_scan_determinismE0ES3_S9_NS6_18transform_iteratorI25linear_index_to_row_indexIiENS6_17counting_iteratorIiNS6_11use_defaultESG_SG_EESG_SG_EENS6_6detail15normal_iteratorINS6_10device_ptrIiEEEESN_SN_PmS8_NS6_8equal_toIiEEEE10hipError_tPvRmT2_T3_mT4_T5_T6_T7_T8_P12ihipStream_tbENKUlT_T0_E_clISt17integral_constantIbLb1EES17_IbLb0EEEEDaS13_S14_EUlS13_E_NS1_11comp_targetILNS1_3genE4ELNS1_11target_archE910ELNS1_3gpuE8ELNS1_3repE0EEENS1_30default_config_static_selectorELNS0_4arch9wavefront6targetE0EEEvT1_, .Lfunc_end33-_ZN7rocprim17ROCPRIM_400000_NS6detail17trampoline_kernelINS0_14default_configENS1_29reduce_by_key_config_selectorIiiN6thrust23THRUST_200600_302600_NS4plusIiEEEEZZNS1_33reduce_by_key_impl_wrapped_configILNS1_25lookback_scan_determinismE0ES3_S9_NS6_18transform_iteratorI25linear_index_to_row_indexIiENS6_17counting_iteratorIiNS6_11use_defaultESG_SG_EESG_SG_EENS6_6detail15normal_iteratorINS6_10device_ptrIiEEEESN_SN_PmS8_NS6_8equal_toIiEEEE10hipError_tPvRmT2_T3_mT4_T5_T6_T7_T8_P12ihipStream_tbENKUlT_T0_E_clISt17integral_constantIbLb1EES17_IbLb0EEEEDaS13_S14_EUlS13_E_NS1_11comp_targetILNS1_3genE4ELNS1_11target_archE910ELNS1_3gpuE8ELNS1_3repE0EEENS1_30default_config_static_selectorELNS0_4arch9wavefront6targetE0EEEvT1_
                                        ; -- End function
	.set _ZN7rocprim17ROCPRIM_400000_NS6detail17trampoline_kernelINS0_14default_configENS1_29reduce_by_key_config_selectorIiiN6thrust23THRUST_200600_302600_NS4plusIiEEEEZZNS1_33reduce_by_key_impl_wrapped_configILNS1_25lookback_scan_determinismE0ES3_S9_NS6_18transform_iteratorI25linear_index_to_row_indexIiENS6_17counting_iteratorIiNS6_11use_defaultESG_SG_EESG_SG_EENS6_6detail15normal_iteratorINS6_10device_ptrIiEEEESN_SN_PmS8_NS6_8equal_toIiEEEE10hipError_tPvRmT2_T3_mT4_T5_T6_T7_T8_P12ihipStream_tbENKUlT_T0_E_clISt17integral_constantIbLb1EES17_IbLb0EEEEDaS13_S14_EUlS13_E_NS1_11comp_targetILNS1_3genE4ELNS1_11target_archE910ELNS1_3gpuE8ELNS1_3repE0EEENS1_30default_config_static_selectorELNS0_4arch9wavefront6targetE0EEEvT1_.num_vgpr, 0
	.set _ZN7rocprim17ROCPRIM_400000_NS6detail17trampoline_kernelINS0_14default_configENS1_29reduce_by_key_config_selectorIiiN6thrust23THRUST_200600_302600_NS4plusIiEEEEZZNS1_33reduce_by_key_impl_wrapped_configILNS1_25lookback_scan_determinismE0ES3_S9_NS6_18transform_iteratorI25linear_index_to_row_indexIiENS6_17counting_iteratorIiNS6_11use_defaultESG_SG_EESG_SG_EENS6_6detail15normal_iteratorINS6_10device_ptrIiEEEESN_SN_PmS8_NS6_8equal_toIiEEEE10hipError_tPvRmT2_T3_mT4_T5_T6_T7_T8_P12ihipStream_tbENKUlT_T0_E_clISt17integral_constantIbLb1EES17_IbLb0EEEEDaS13_S14_EUlS13_E_NS1_11comp_targetILNS1_3genE4ELNS1_11target_archE910ELNS1_3gpuE8ELNS1_3repE0EEENS1_30default_config_static_selectorELNS0_4arch9wavefront6targetE0EEEvT1_.num_agpr, 0
	.set _ZN7rocprim17ROCPRIM_400000_NS6detail17trampoline_kernelINS0_14default_configENS1_29reduce_by_key_config_selectorIiiN6thrust23THRUST_200600_302600_NS4plusIiEEEEZZNS1_33reduce_by_key_impl_wrapped_configILNS1_25lookback_scan_determinismE0ES3_S9_NS6_18transform_iteratorI25linear_index_to_row_indexIiENS6_17counting_iteratorIiNS6_11use_defaultESG_SG_EESG_SG_EENS6_6detail15normal_iteratorINS6_10device_ptrIiEEEESN_SN_PmS8_NS6_8equal_toIiEEEE10hipError_tPvRmT2_T3_mT4_T5_T6_T7_T8_P12ihipStream_tbENKUlT_T0_E_clISt17integral_constantIbLb1EES17_IbLb0EEEEDaS13_S14_EUlS13_E_NS1_11comp_targetILNS1_3genE4ELNS1_11target_archE910ELNS1_3gpuE8ELNS1_3repE0EEENS1_30default_config_static_selectorELNS0_4arch9wavefront6targetE0EEEvT1_.numbered_sgpr, 0
	.set _ZN7rocprim17ROCPRIM_400000_NS6detail17trampoline_kernelINS0_14default_configENS1_29reduce_by_key_config_selectorIiiN6thrust23THRUST_200600_302600_NS4plusIiEEEEZZNS1_33reduce_by_key_impl_wrapped_configILNS1_25lookback_scan_determinismE0ES3_S9_NS6_18transform_iteratorI25linear_index_to_row_indexIiENS6_17counting_iteratorIiNS6_11use_defaultESG_SG_EESG_SG_EENS6_6detail15normal_iteratorINS6_10device_ptrIiEEEESN_SN_PmS8_NS6_8equal_toIiEEEE10hipError_tPvRmT2_T3_mT4_T5_T6_T7_T8_P12ihipStream_tbENKUlT_T0_E_clISt17integral_constantIbLb1EES17_IbLb0EEEEDaS13_S14_EUlS13_E_NS1_11comp_targetILNS1_3genE4ELNS1_11target_archE910ELNS1_3gpuE8ELNS1_3repE0EEENS1_30default_config_static_selectorELNS0_4arch9wavefront6targetE0EEEvT1_.num_named_barrier, 0
	.set _ZN7rocprim17ROCPRIM_400000_NS6detail17trampoline_kernelINS0_14default_configENS1_29reduce_by_key_config_selectorIiiN6thrust23THRUST_200600_302600_NS4plusIiEEEEZZNS1_33reduce_by_key_impl_wrapped_configILNS1_25lookback_scan_determinismE0ES3_S9_NS6_18transform_iteratorI25linear_index_to_row_indexIiENS6_17counting_iteratorIiNS6_11use_defaultESG_SG_EESG_SG_EENS6_6detail15normal_iteratorINS6_10device_ptrIiEEEESN_SN_PmS8_NS6_8equal_toIiEEEE10hipError_tPvRmT2_T3_mT4_T5_T6_T7_T8_P12ihipStream_tbENKUlT_T0_E_clISt17integral_constantIbLb1EES17_IbLb0EEEEDaS13_S14_EUlS13_E_NS1_11comp_targetILNS1_3genE4ELNS1_11target_archE910ELNS1_3gpuE8ELNS1_3repE0EEENS1_30default_config_static_selectorELNS0_4arch9wavefront6targetE0EEEvT1_.private_seg_size, 0
	.set _ZN7rocprim17ROCPRIM_400000_NS6detail17trampoline_kernelINS0_14default_configENS1_29reduce_by_key_config_selectorIiiN6thrust23THRUST_200600_302600_NS4plusIiEEEEZZNS1_33reduce_by_key_impl_wrapped_configILNS1_25lookback_scan_determinismE0ES3_S9_NS6_18transform_iteratorI25linear_index_to_row_indexIiENS6_17counting_iteratorIiNS6_11use_defaultESG_SG_EESG_SG_EENS6_6detail15normal_iteratorINS6_10device_ptrIiEEEESN_SN_PmS8_NS6_8equal_toIiEEEE10hipError_tPvRmT2_T3_mT4_T5_T6_T7_T8_P12ihipStream_tbENKUlT_T0_E_clISt17integral_constantIbLb1EES17_IbLb0EEEEDaS13_S14_EUlS13_E_NS1_11comp_targetILNS1_3genE4ELNS1_11target_archE910ELNS1_3gpuE8ELNS1_3repE0EEENS1_30default_config_static_selectorELNS0_4arch9wavefront6targetE0EEEvT1_.uses_vcc, 0
	.set _ZN7rocprim17ROCPRIM_400000_NS6detail17trampoline_kernelINS0_14default_configENS1_29reduce_by_key_config_selectorIiiN6thrust23THRUST_200600_302600_NS4plusIiEEEEZZNS1_33reduce_by_key_impl_wrapped_configILNS1_25lookback_scan_determinismE0ES3_S9_NS6_18transform_iteratorI25linear_index_to_row_indexIiENS6_17counting_iteratorIiNS6_11use_defaultESG_SG_EESG_SG_EENS6_6detail15normal_iteratorINS6_10device_ptrIiEEEESN_SN_PmS8_NS6_8equal_toIiEEEE10hipError_tPvRmT2_T3_mT4_T5_T6_T7_T8_P12ihipStream_tbENKUlT_T0_E_clISt17integral_constantIbLb1EES17_IbLb0EEEEDaS13_S14_EUlS13_E_NS1_11comp_targetILNS1_3genE4ELNS1_11target_archE910ELNS1_3gpuE8ELNS1_3repE0EEENS1_30default_config_static_selectorELNS0_4arch9wavefront6targetE0EEEvT1_.uses_flat_scratch, 0
	.set _ZN7rocprim17ROCPRIM_400000_NS6detail17trampoline_kernelINS0_14default_configENS1_29reduce_by_key_config_selectorIiiN6thrust23THRUST_200600_302600_NS4plusIiEEEEZZNS1_33reduce_by_key_impl_wrapped_configILNS1_25lookback_scan_determinismE0ES3_S9_NS6_18transform_iteratorI25linear_index_to_row_indexIiENS6_17counting_iteratorIiNS6_11use_defaultESG_SG_EESG_SG_EENS6_6detail15normal_iteratorINS6_10device_ptrIiEEEESN_SN_PmS8_NS6_8equal_toIiEEEE10hipError_tPvRmT2_T3_mT4_T5_T6_T7_T8_P12ihipStream_tbENKUlT_T0_E_clISt17integral_constantIbLb1EES17_IbLb0EEEEDaS13_S14_EUlS13_E_NS1_11comp_targetILNS1_3genE4ELNS1_11target_archE910ELNS1_3gpuE8ELNS1_3repE0EEENS1_30default_config_static_selectorELNS0_4arch9wavefront6targetE0EEEvT1_.has_dyn_sized_stack, 0
	.set _ZN7rocprim17ROCPRIM_400000_NS6detail17trampoline_kernelINS0_14default_configENS1_29reduce_by_key_config_selectorIiiN6thrust23THRUST_200600_302600_NS4plusIiEEEEZZNS1_33reduce_by_key_impl_wrapped_configILNS1_25lookback_scan_determinismE0ES3_S9_NS6_18transform_iteratorI25linear_index_to_row_indexIiENS6_17counting_iteratorIiNS6_11use_defaultESG_SG_EESG_SG_EENS6_6detail15normal_iteratorINS6_10device_ptrIiEEEESN_SN_PmS8_NS6_8equal_toIiEEEE10hipError_tPvRmT2_T3_mT4_T5_T6_T7_T8_P12ihipStream_tbENKUlT_T0_E_clISt17integral_constantIbLb1EES17_IbLb0EEEEDaS13_S14_EUlS13_E_NS1_11comp_targetILNS1_3genE4ELNS1_11target_archE910ELNS1_3gpuE8ELNS1_3repE0EEENS1_30default_config_static_selectorELNS0_4arch9wavefront6targetE0EEEvT1_.has_recursion, 0
	.set _ZN7rocprim17ROCPRIM_400000_NS6detail17trampoline_kernelINS0_14default_configENS1_29reduce_by_key_config_selectorIiiN6thrust23THRUST_200600_302600_NS4plusIiEEEEZZNS1_33reduce_by_key_impl_wrapped_configILNS1_25lookback_scan_determinismE0ES3_S9_NS6_18transform_iteratorI25linear_index_to_row_indexIiENS6_17counting_iteratorIiNS6_11use_defaultESG_SG_EESG_SG_EENS6_6detail15normal_iteratorINS6_10device_ptrIiEEEESN_SN_PmS8_NS6_8equal_toIiEEEE10hipError_tPvRmT2_T3_mT4_T5_T6_T7_T8_P12ihipStream_tbENKUlT_T0_E_clISt17integral_constantIbLb1EES17_IbLb0EEEEDaS13_S14_EUlS13_E_NS1_11comp_targetILNS1_3genE4ELNS1_11target_archE910ELNS1_3gpuE8ELNS1_3repE0EEENS1_30default_config_static_selectorELNS0_4arch9wavefront6targetE0EEEvT1_.has_indirect_call, 0
	.section	.AMDGPU.csdata,"",@progbits
; Kernel info:
; codeLenInByte = 0
; TotalNumSgprs: 0
; NumVgprs: 0
; ScratchSize: 0
; MemoryBound: 0
; FloatMode: 240
; IeeeMode: 1
; LDSByteSize: 0 bytes/workgroup (compile time only)
; SGPRBlocks: 0
; VGPRBlocks: 0
; NumSGPRsForWavesPerEU: 1
; NumVGPRsForWavesPerEU: 1
; Occupancy: 16
; WaveLimiterHint : 0
; COMPUTE_PGM_RSRC2:SCRATCH_EN: 0
; COMPUTE_PGM_RSRC2:USER_SGPR: 6
; COMPUTE_PGM_RSRC2:TRAP_HANDLER: 0
; COMPUTE_PGM_RSRC2:TGID_X_EN: 1
; COMPUTE_PGM_RSRC2:TGID_Y_EN: 0
; COMPUTE_PGM_RSRC2:TGID_Z_EN: 0
; COMPUTE_PGM_RSRC2:TIDIG_COMP_CNT: 0
	.section	.text._ZN7rocprim17ROCPRIM_400000_NS6detail17trampoline_kernelINS0_14default_configENS1_29reduce_by_key_config_selectorIiiN6thrust23THRUST_200600_302600_NS4plusIiEEEEZZNS1_33reduce_by_key_impl_wrapped_configILNS1_25lookback_scan_determinismE0ES3_S9_NS6_18transform_iteratorI25linear_index_to_row_indexIiENS6_17counting_iteratorIiNS6_11use_defaultESG_SG_EESG_SG_EENS6_6detail15normal_iteratorINS6_10device_ptrIiEEEESN_SN_PmS8_NS6_8equal_toIiEEEE10hipError_tPvRmT2_T3_mT4_T5_T6_T7_T8_P12ihipStream_tbENKUlT_T0_E_clISt17integral_constantIbLb1EES17_IbLb0EEEEDaS13_S14_EUlS13_E_NS1_11comp_targetILNS1_3genE3ELNS1_11target_archE908ELNS1_3gpuE7ELNS1_3repE0EEENS1_30default_config_static_selectorELNS0_4arch9wavefront6targetE0EEEvT1_,"axG",@progbits,_ZN7rocprim17ROCPRIM_400000_NS6detail17trampoline_kernelINS0_14default_configENS1_29reduce_by_key_config_selectorIiiN6thrust23THRUST_200600_302600_NS4plusIiEEEEZZNS1_33reduce_by_key_impl_wrapped_configILNS1_25lookback_scan_determinismE0ES3_S9_NS6_18transform_iteratorI25linear_index_to_row_indexIiENS6_17counting_iteratorIiNS6_11use_defaultESG_SG_EESG_SG_EENS6_6detail15normal_iteratorINS6_10device_ptrIiEEEESN_SN_PmS8_NS6_8equal_toIiEEEE10hipError_tPvRmT2_T3_mT4_T5_T6_T7_T8_P12ihipStream_tbENKUlT_T0_E_clISt17integral_constantIbLb1EES17_IbLb0EEEEDaS13_S14_EUlS13_E_NS1_11comp_targetILNS1_3genE3ELNS1_11target_archE908ELNS1_3gpuE7ELNS1_3repE0EEENS1_30default_config_static_selectorELNS0_4arch9wavefront6targetE0EEEvT1_,comdat
	.protected	_ZN7rocprim17ROCPRIM_400000_NS6detail17trampoline_kernelINS0_14default_configENS1_29reduce_by_key_config_selectorIiiN6thrust23THRUST_200600_302600_NS4plusIiEEEEZZNS1_33reduce_by_key_impl_wrapped_configILNS1_25lookback_scan_determinismE0ES3_S9_NS6_18transform_iteratorI25linear_index_to_row_indexIiENS6_17counting_iteratorIiNS6_11use_defaultESG_SG_EESG_SG_EENS6_6detail15normal_iteratorINS6_10device_ptrIiEEEESN_SN_PmS8_NS6_8equal_toIiEEEE10hipError_tPvRmT2_T3_mT4_T5_T6_T7_T8_P12ihipStream_tbENKUlT_T0_E_clISt17integral_constantIbLb1EES17_IbLb0EEEEDaS13_S14_EUlS13_E_NS1_11comp_targetILNS1_3genE3ELNS1_11target_archE908ELNS1_3gpuE7ELNS1_3repE0EEENS1_30default_config_static_selectorELNS0_4arch9wavefront6targetE0EEEvT1_ ; -- Begin function _ZN7rocprim17ROCPRIM_400000_NS6detail17trampoline_kernelINS0_14default_configENS1_29reduce_by_key_config_selectorIiiN6thrust23THRUST_200600_302600_NS4plusIiEEEEZZNS1_33reduce_by_key_impl_wrapped_configILNS1_25lookback_scan_determinismE0ES3_S9_NS6_18transform_iteratorI25linear_index_to_row_indexIiENS6_17counting_iteratorIiNS6_11use_defaultESG_SG_EESG_SG_EENS6_6detail15normal_iteratorINS6_10device_ptrIiEEEESN_SN_PmS8_NS6_8equal_toIiEEEE10hipError_tPvRmT2_T3_mT4_T5_T6_T7_T8_P12ihipStream_tbENKUlT_T0_E_clISt17integral_constantIbLb1EES17_IbLb0EEEEDaS13_S14_EUlS13_E_NS1_11comp_targetILNS1_3genE3ELNS1_11target_archE908ELNS1_3gpuE7ELNS1_3repE0EEENS1_30default_config_static_selectorELNS0_4arch9wavefront6targetE0EEEvT1_
	.globl	_ZN7rocprim17ROCPRIM_400000_NS6detail17trampoline_kernelINS0_14default_configENS1_29reduce_by_key_config_selectorIiiN6thrust23THRUST_200600_302600_NS4plusIiEEEEZZNS1_33reduce_by_key_impl_wrapped_configILNS1_25lookback_scan_determinismE0ES3_S9_NS6_18transform_iteratorI25linear_index_to_row_indexIiENS6_17counting_iteratorIiNS6_11use_defaultESG_SG_EESG_SG_EENS6_6detail15normal_iteratorINS6_10device_ptrIiEEEESN_SN_PmS8_NS6_8equal_toIiEEEE10hipError_tPvRmT2_T3_mT4_T5_T6_T7_T8_P12ihipStream_tbENKUlT_T0_E_clISt17integral_constantIbLb1EES17_IbLb0EEEEDaS13_S14_EUlS13_E_NS1_11comp_targetILNS1_3genE3ELNS1_11target_archE908ELNS1_3gpuE7ELNS1_3repE0EEENS1_30default_config_static_selectorELNS0_4arch9wavefront6targetE0EEEvT1_
	.p2align	8
	.type	_ZN7rocprim17ROCPRIM_400000_NS6detail17trampoline_kernelINS0_14default_configENS1_29reduce_by_key_config_selectorIiiN6thrust23THRUST_200600_302600_NS4plusIiEEEEZZNS1_33reduce_by_key_impl_wrapped_configILNS1_25lookback_scan_determinismE0ES3_S9_NS6_18transform_iteratorI25linear_index_to_row_indexIiENS6_17counting_iteratorIiNS6_11use_defaultESG_SG_EESG_SG_EENS6_6detail15normal_iteratorINS6_10device_ptrIiEEEESN_SN_PmS8_NS6_8equal_toIiEEEE10hipError_tPvRmT2_T3_mT4_T5_T6_T7_T8_P12ihipStream_tbENKUlT_T0_E_clISt17integral_constantIbLb1EES17_IbLb0EEEEDaS13_S14_EUlS13_E_NS1_11comp_targetILNS1_3genE3ELNS1_11target_archE908ELNS1_3gpuE7ELNS1_3repE0EEENS1_30default_config_static_selectorELNS0_4arch9wavefront6targetE0EEEvT1_,@function
_ZN7rocprim17ROCPRIM_400000_NS6detail17trampoline_kernelINS0_14default_configENS1_29reduce_by_key_config_selectorIiiN6thrust23THRUST_200600_302600_NS4plusIiEEEEZZNS1_33reduce_by_key_impl_wrapped_configILNS1_25lookback_scan_determinismE0ES3_S9_NS6_18transform_iteratorI25linear_index_to_row_indexIiENS6_17counting_iteratorIiNS6_11use_defaultESG_SG_EESG_SG_EENS6_6detail15normal_iteratorINS6_10device_ptrIiEEEESN_SN_PmS8_NS6_8equal_toIiEEEE10hipError_tPvRmT2_T3_mT4_T5_T6_T7_T8_P12ihipStream_tbENKUlT_T0_E_clISt17integral_constantIbLb1EES17_IbLb0EEEEDaS13_S14_EUlS13_E_NS1_11comp_targetILNS1_3genE3ELNS1_11target_archE908ELNS1_3gpuE7ELNS1_3repE0EEENS1_30default_config_static_selectorELNS0_4arch9wavefront6targetE0EEEvT1_: ; @_ZN7rocprim17ROCPRIM_400000_NS6detail17trampoline_kernelINS0_14default_configENS1_29reduce_by_key_config_selectorIiiN6thrust23THRUST_200600_302600_NS4plusIiEEEEZZNS1_33reduce_by_key_impl_wrapped_configILNS1_25lookback_scan_determinismE0ES3_S9_NS6_18transform_iteratorI25linear_index_to_row_indexIiENS6_17counting_iteratorIiNS6_11use_defaultESG_SG_EESG_SG_EENS6_6detail15normal_iteratorINS6_10device_ptrIiEEEESN_SN_PmS8_NS6_8equal_toIiEEEE10hipError_tPvRmT2_T3_mT4_T5_T6_T7_T8_P12ihipStream_tbENKUlT_T0_E_clISt17integral_constantIbLb1EES17_IbLb0EEEEDaS13_S14_EUlS13_E_NS1_11comp_targetILNS1_3genE3ELNS1_11target_archE908ELNS1_3gpuE7ELNS1_3repE0EEENS1_30default_config_static_selectorELNS0_4arch9wavefront6targetE0EEEvT1_
; %bb.0:
	.section	.rodata,"a",@progbits
	.p2align	6, 0x0
	.amdhsa_kernel _ZN7rocprim17ROCPRIM_400000_NS6detail17trampoline_kernelINS0_14default_configENS1_29reduce_by_key_config_selectorIiiN6thrust23THRUST_200600_302600_NS4plusIiEEEEZZNS1_33reduce_by_key_impl_wrapped_configILNS1_25lookback_scan_determinismE0ES3_S9_NS6_18transform_iteratorI25linear_index_to_row_indexIiENS6_17counting_iteratorIiNS6_11use_defaultESG_SG_EESG_SG_EENS6_6detail15normal_iteratorINS6_10device_ptrIiEEEESN_SN_PmS8_NS6_8equal_toIiEEEE10hipError_tPvRmT2_T3_mT4_T5_T6_T7_T8_P12ihipStream_tbENKUlT_T0_E_clISt17integral_constantIbLb1EES17_IbLb0EEEEDaS13_S14_EUlS13_E_NS1_11comp_targetILNS1_3genE3ELNS1_11target_archE908ELNS1_3gpuE7ELNS1_3repE0EEENS1_30default_config_static_selectorELNS0_4arch9wavefront6targetE0EEEvT1_
		.amdhsa_group_segment_fixed_size 0
		.amdhsa_private_segment_fixed_size 0
		.amdhsa_kernarg_size 120
		.amdhsa_user_sgpr_count 6
		.amdhsa_user_sgpr_private_segment_buffer 1
		.amdhsa_user_sgpr_dispatch_ptr 0
		.amdhsa_user_sgpr_queue_ptr 0
		.amdhsa_user_sgpr_kernarg_segment_ptr 1
		.amdhsa_user_sgpr_dispatch_id 0
		.amdhsa_user_sgpr_flat_scratch_init 0
		.amdhsa_user_sgpr_private_segment_size 0
		.amdhsa_wavefront_size32 1
		.amdhsa_uses_dynamic_stack 0
		.amdhsa_system_sgpr_private_segment_wavefront_offset 0
		.amdhsa_system_sgpr_workgroup_id_x 1
		.amdhsa_system_sgpr_workgroup_id_y 0
		.amdhsa_system_sgpr_workgroup_id_z 0
		.amdhsa_system_sgpr_workgroup_info 0
		.amdhsa_system_vgpr_workitem_id 0
		.amdhsa_next_free_vgpr 1
		.amdhsa_next_free_sgpr 1
		.amdhsa_reserve_vcc 0
		.amdhsa_reserve_flat_scratch 0
		.amdhsa_float_round_mode_32 0
		.amdhsa_float_round_mode_16_64 0
		.amdhsa_float_denorm_mode_32 3
		.amdhsa_float_denorm_mode_16_64 3
		.amdhsa_dx10_clamp 1
		.amdhsa_ieee_mode 1
		.amdhsa_fp16_overflow 0
		.amdhsa_workgroup_processor_mode 1
		.amdhsa_memory_ordered 1
		.amdhsa_forward_progress 1
		.amdhsa_shared_vgpr_count 0
		.amdhsa_exception_fp_ieee_invalid_op 0
		.amdhsa_exception_fp_denorm_src 0
		.amdhsa_exception_fp_ieee_div_zero 0
		.amdhsa_exception_fp_ieee_overflow 0
		.amdhsa_exception_fp_ieee_underflow 0
		.amdhsa_exception_fp_ieee_inexact 0
		.amdhsa_exception_int_div_zero 0
	.end_amdhsa_kernel
	.section	.text._ZN7rocprim17ROCPRIM_400000_NS6detail17trampoline_kernelINS0_14default_configENS1_29reduce_by_key_config_selectorIiiN6thrust23THRUST_200600_302600_NS4plusIiEEEEZZNS1_33reduce_by_key_impl_wrapped_configILNS1_25lookback_scan_determinismE0ES3_S9_NS6_18transform_iteratorI25linear_index_to_row_indexIiENS6_17counting_iteratorIiNS6_11use_defaultESG_SG_EESG_SG_EENS6_6detail15normal_iteratorINS6_10device_ptrIiEEEESN_SN_PmS8_NS6_8equal_toIiEEEE10hipError_tPvRmT2_T3_mT4_T5_T6_T7_T8_P12ihipStream_tbENKUlT_T0_E_clISt17integral_constantIbLb1EES17_IbLb0EEEEDaS13_S14_EUlS13_E_NS1_11comp_targetILNS1_3genE3ELNS1_11target_archE908ELNS1_3gpuE7ELNS1_3repE0EEENS1_30default_config_static_selectorELNS0_4arch9wavefront6targetE0EEEvT1_,"axG",@progbits,_ZN7rocprim17ROCPRIM_400000_NS6detail17trampoline_kernelINS0_14default_configENS1_29reduce_by_key_config_selectorIiiN6thrust23THRUST_200600_302600_NS4plusIiEEEEZZNS1_33reduce_by_key_impl_wrapped_configILNS1_25lookback_scan_determinismE0ES3_S9_NS6_18transform_iteratorI25linear_index_to_row_indexIiENS6_17counting_iteratorIiNS6_11use_defaultESG_SG_EESG_SG_EENS6_6detail15normal_iteratorINS6_10device_ptrIiEEEESN_SN_PmS8_NS6_8equal_toIiEEEE10hipError_tPvRmT2_T3_mT4_T5_T6_T7_T8_P12ihipStream_tbENKUlT_T0_E_clISt17integral_constantIbLb1EES17_IbLb0EEEEDaS13_S14_EUlS13_E_NS1_11comp_targetILNS1_3genE3ELNS1_11target_archE908ELNS1_3gpuE7ELNS1_3repE0EEENS1_30default_config_static_selectorELNS0_4arch9wavefront6targetE0EEEvT1_,comdat
.Lfunc_end34:
	.size	_ZN7rocprim17ROCPRIM_400000_NS6detail17trampoline_kernelINS0_14default_configENS1_29reduce_by_key_config_selectorIiiN6thrust23THRUST_200600_302600_NS4plusIiEEEEZZNS1_33reduce_by_key_impl_wrapped_configILNS1_25lookback_scan_determinismE0ES3_S9_NS6_18transform_iteratorI25linear_index_to_row_indexIiENS6_17counting_iteratorIiNS6_11use_defaultESG_SG_EESG_SG_EENS6_6detail15normal_iteratorINS6_10device_ptrIiEEEESN_SN_PmS8_NS6_8equal_toIiEEEE10hipError_tPvRmT2_T3_mT4_T5_T6_T7_T8_P12ihipStream_tbENKUlT_T0_E_clISt17integral_constantIbLb1EES17_IbLb0EEEEDaS13_S14_EUlS13_E_NS1_11comp_targetILNS1_3genE3ELNS1_11target_archE908ELNS1_3gpuE7ELNS1_3repE0EEENS1_30default_config_static_selectorELNS0_4arch9wavefront6targetE0EEEvT1_, .Lfunc_end34-_ZN7rocprim17ROCPRIM_400000_NS6detail17trampoline_kernelINS0_14default_configENS1_29reduce_by_key_config_selectorIiiN6thrust23THRUST_200600_302600_NS4plusIiEEEEZZNS1_33reduce_by_key_impl_wrapped_configILNS1_25lookback_scan_determinismE0ES3_S9_NS6_18transform_iteratorI25linear_index_to_row_indexIiENS6_17counting_iteratorIiNS6_11use_defaultESG_SG_EESG_SG_EENS6_6detail15normal_iteratorINS6_10device_ptrIiEEEESN_SN_PmS8_NS6_8equal_toIiEEEE10hipError_tPvRmT2_T3_mT4_T5_T6_T7_T8_P12ihipStream_tbENKUlT_T0_E_clISt17integral_constantIbLb1EES17_IbLb0EEEEDaS13_S14_EUlS13_E_NS1_11comp_targetILNS1_3genE3ELNS1_11target_archE908ELNS1_3gpuE7ELNS1_3repE0EEENS1_30default_config_static_selectorELNS0_4arch9wavefront6targetE0EEEvT1_
                                        ; -- End function
	.set _ZN7rocprim17ROCPRIM_400000_NS6detail17trampoline_kernelINS0_14default_configENS1_29reduce_by_key_config_selectorIiiN6thrust23THRUST_200600_302600_NS4plusIiEEEEZZNS1_33reduce_by_key_impl_wrapped_configILNS1_25lookback_scan_determinismE0ES3_S9_NS6_18transform_iteratorI25linear_index_to_row_indexIiENS6_17counting_iteratorIiNS6_11use_defaultESG_SG_EESG_SG_EENS6_6detail15normal_iteratorINS6_10device_ptrIiEEEESN_SN_PmS8_NS6_8equal_toIiEEEE10hipError_tPvRmT2_T3_mT4_T5_T6_T7_T8_P12ihipStream_tbENKUlT_T0_E_clISt17integral_constantIbLb1EES17_IbLb0EEEEDaS13_S14_EUlS13_E_NS1_11comp_targetILNS1_3genE3ELNS1_11target_archE908ELNS1_3gpuE7ELNS1_3repE0EEENS1_30default_config_static_selectorELNS0_4arch9wavefront6targetE0EEEvT1_.num_vgpr, 0
	.set _ZN7rocprim17ROCPRIM_400000_NS6detail17trampoline_kernelINS0_14default_configENS1_29reduce_by_key_config_selectorIiiN6thrust23THRUST_200600_302600_NS4plusIiEEEEZZNS1_33reduce_by_key_impl_wrapped_configILNS1_25lookback_scan_determinismE0ES3_S9_NS6_18transform_iteratorI25linear_index_to_row_indexIiENS6_17counting_iteratorIiNS6_11use_defaultESG_SG_EESG_SG_EENS6_6detail15normal_iteratorINS6_10device_ptrIiEEEESN_SN_PmS8_NS6_8equal_toIiEEEE10hipError_tPvRmT2_T3_mT4_T5_T6_T7_T8_P12ihipStream_tbENKUlT_T0_E_clISt17integral_constantIbLb1EES17_IbLb0EEEEDaS13_S14_EUlS13_E_NS1_11comp_targetILNS1_3genE3ELNS1_11target_archE908ELNS1_3gpuE7ELNS1_3repE0EEENS1_30default_config_static_selectorELNS0_4arch9wavefront6targetE0EEEvT1_.num_agpr, 0
	.set _ZN7rocprim17ROCPRIM_400000_NS6detail17trampoline_kernelINS0_14default_configENS1_29reduce_by_key_config_selectorIiiN6thrust23THRUST_200600_302600_NS4plusIiEEEEZZNS1_33reduce_by_key_impl_wrapped_configILNS1_25lookback_scan_determinismE0ES3_S9_NS6_18transform_iteratorI25linear_index_to_row_indexIiENS6_17counting_iteratorIiNS6_11use_defaultESG_SG_EESG_SG_EENS6_6detail15normal_iteratorINS6_10device_ptrIiEEEESN_SN_PmS8_NS6_8equal_toIiEEEE10hipError_tPvRmT2_T3_mT4_T5_T6_T7_T8_P12ihipStream_tbENKUlT_T0_E_clISt17integral_constantIbLb1EES17_IbLb0EEEEDaS13_S14_EUlS13_E_NS1_11comp_targetILNS1_3genE3ELNS1_11target_archE908ELNS1_3gpuE7ELNS1_3repE0EEENS1_30default_config_static_selectorELNS0_4arch9wavefront6targetE0EEEvT1_.numbered_sgpr, 0
	.set _ZN7rocprim17ROCPRIM_400000_NS6detail17trampoline_kernelINS0_14default_configENS1_29reduce_by_key_config_selectorIiiN6thrust23THRUST_200600_302600_NS4plusIiEEEEZZNS1_33reduce_by_key_impl_wrapped_configILNS1_25lookback_scan_determinismE0ES3_S9_NS6_18transform_iteratorI25linear_index_to_row_indexIiENS6_17counting_iteratorIiNS6_11use_defaultESG_SG_EESG_SG_EENS6_6detail15normal_iteratorINS6_10device_ptrIiEEEESN_SN_PmS8_NS6_8equal_toIiEEEE10hipError_tPvRmT2_T3_mT4_T5_T6_T7_T8_P12ihipStream_tbENKUlT_T0_E_clISt17integral_constantIbLb1EES17_IbLb0EEEEDaS13_S14_EUlS13_E_NS1_11comp_targetILNS1_3genE3ELNS1_11target_archE908ELNS1_3gpuE7ELNS1_3repE0EEENS1_30default_config_static_selectorELNS0_4arch9wavefront6targetE0EEEvT1_.num_named_barrier, 0
	.set _ZN7rocprim17ROCPRIM_400000_NS6detail17trampoline_kernelINS0_14default_configENS1_29reduce_by_key_config_selectorIiiN6thrust23THRUST_200600_302600_NS4plusIiEEEEZZNS1_33reduce_by_key_impl_wrapped_configILNS1_25lookback_scan_determinismE0ES3_S9_NS6_18transform_iteratorI25linear_index_to_row_indexIiENS6_17counting_iteratorIiNS6_11use_defaultESG_SG_EESG_SG_EENS6_6detail15normal_iteratorINS6_10device_ptrIiEEEESN_SN_PmS8_NS6_8equal_toIiEEEE10hipError_tPvRmT2_T3_mT4_T5_T6_T7_T8_P12ihipStream_tbENKUlT_T0_E_clISt17integral_constantIbLb1EES17_IbLb0EEEEDaS13_S14_EUlS13_E_NS1_11comp_targetILNS1_3genE3ELNS1_11target_archE908ELNS1_3gpuE7ELNS1_3repE0EEENS1_30default_config_static_selectorELNS0_4arch9wavefront6targetE0EEEvT1_.private_seg_size, 0
	.set _ZN7rocprim17ROCPRIM_400000_NS6detail17trampoline_kernelINS0_14default_configENS1_29reduce_by_key_config_selectorIiiN6thrust23THRUST_200600_302600_NS4plusIiEEEEZZNS1_33reduce_by_key_impl_wrapped_configILNS1_25lookback_scan_determinismE0ES3_S9_NS6_18transform_iteratorI25linear_index_to_row_indexIiENS6_17counting_iteratorIiNS6_11use_defaultESG_SG_EESG_SG_EENS6_6detail15normal_iteratorINS6_10device_ptrIiEEEESN_SN_PmS8_NS6_8equal_toIiEEEE10hipError_tPvRmT2_T3_mT4_T5_T6_T7_T8_P12ihipStream_tbENKUlT_T0_E_clISt17integral_constantIbLb1EES17_IbLb0EEEEDaS13_S14_EUlS13_E_NS1_11comp_targetILNS1_3genE3ELNS1_11target_archE908ELNS1_3gpuE7ELNS1_3repE0EEENS1_30default_config_static_selectorELNS0_4arch9wavefront6targetE0EEEvT1_.uses_vcc, 0
	.set _ZN7rocprim17ROCPRIM_400000_NS6detail17trampoline_kernelINS0_14default_configENS1_29reduce_by_key_config_selectorIiiN6thrust23THRUST_200600_302600_NS4plusIiEEEEZZNS1_33reduce_by_key_impl_wrapped_configILNS1_25lookback_scan_determinismE0ES3_S9_NS6_18transform_iteratorI25linear_index_to_row_indexIiENS6_17counting_iteratorIiNS6_11use_defaultESG_SG_EESG_SG_EENS6_6detail15normal_iteratorINS6_10device_ptrIiEEEESN_SN_PmS8_NS6_8equal_toIiEEEE10hipError_tPvRmT2_T3_mT4_T5_T6_T7_T8_P12ihipStream_tbENKUlT_T0_E_clISt17integral_constantIbLb1EES17_IbLb0EEEEDaS13_S14_EUlS13_E_NS1_11comp_targetILNS1_3genE3ELNS1_11target_archE908ELNS1_3gpuE7ELNS1_3repE0EEENS1_30default_config_static_selectorELNS0_4arch9wavefront6targetE0EEEvT1_.uses_flat_scratch, 0
	.set _ZN7rocprim17ROCPRIM_400000_NS6detail17trampoline_kernelINS0_14default_configENS1_29reduce_by_key_config_selectorIiiN6thrust23THRUST_200600_302600_NS4plusIiEEEEZZNS1_33reduce_by_key_impl_wrapped_configILNS1_25lookback_scan_determinismE0ES3_S9_NS6_18transform_iteratorI25linear_index_to_row_indexIiENS6_17counting_iteratorIiNS6_11use_defaultESG_SG_EESG_SG_EENS6_6detail15normal_iteratorINS6_10device_ptrIiEEEESN_SN_PmS8_NS6_8equal_toIiEEEE10hipError_tPvRmT2_T3_mT4_T5_T6_T7_T8_P12ihipStream_tbENKUlT_T0_E_clISt17integral_constantIbLb1EES17_IbLb0EEEEDaS13_S14_EUlS13_E_NS1_11comp_targetILNS1_3genE3ELNS1_11target_archE908ELNS1_3gpuE7ELNS1_3repE0EEENS1_30default_config_static_selectorELNS0_4arch9wavefront6targetE0EEEvT1_.has_dyn_sized_stack, 0
	.set _ZN7rocprim17ROCPRIM_400000_NS6detail17trampoline_kernelINS0_14default_configENS1_29reduce_by_key_config_selectorIiiN6thrust23THRUST_200600_302600_NS4plusIiEEEEZZNS1_33reduce_by_key_impl_wrapped_configILNS1_25lookback_scan_determinismE0ES3_S9_NS6_18transform_iteratorI25linear_index_to_row_indexIiENS6_17counting_iteratorIiNS6_11use_defaultESG_SG_EESG_SG_EENS6_6detail15normal_iteratorINS6_10device_ptrIiEEEESN_SN_PmS8_NS6_8equal_toIiEEEE10hipError_tPvRmT2_T3_mT4_T5_T6_T7_T8_P12ihipStream_tbENKUlT_T0_E_clISt17integral_constantIbLb1EES17_IbLb0EEEEDaS13_S14_EUlS13_E_NS1_11comp_targetILNS1_3genE3ELNS1_11target_archE908ELNS1_3gpuE7ELNS1_3repE0EEENS1_30default_config_static_selectorELNS0_4arch9wavefront6targetE0EEEvT1_.has_recursion, 0
	.set _ZN7rocprim17ROCPRIM_400000_NS6detail17trampoline_kernelINS0_14default_configENS1_29reduce_by_key_config_selectorIiiN6thrust23THRUST_200600_302600_NS4plusIiEEEEZZNS1_33reduce_by_key_impl_wrapped_configILNS1_25lookback_scan_determinismE0ES3_S9_NS6_18transform_iteratorI25linear_index_to_row_indexIiENS6_17counting_iteratorIiNS6_11use_defaultESG_SG_EESG_SG_EENS6_6detail15normal_iteratorINS6_10device_ptrIiEEEESN_SN_PmS8_NS6_8equal_toIiEEEE10hipError_tPvRmT2_T3_mT4_T5_T6_T7_T8_P12ihipStream_tbENKUlT_T0_E_clISt17integral_constantIbLb1EES17_IbLb0EEEEDaS13_S14_EUlS13_E_NS1_11comp_targetILNS1_3genE3ELNS1_11target_archE908ELNS1_3gpuE7ELNS1_3repE0EEENS1_30default_config_static_selectorELNS0_4arch9wavefront6targetE0EEEvT1_.has_indirect_call, 0
	.section	.AMDGPU.csdata,"",@progbits
; Kernel info:
; codeLenInByte = 0
; TotalNumSgprs: 0
; NumVgprs: 0
; ScratchSize: 0
; MemoryBound: 0
; FloatMode: 240
; IeeeMode: 1
; LDSByteSize: 0 bytes/workgroup (compile time only)
; SGPRBlocks: 0
; VGPRBlocks: 0
; NumSGPRsForWavesPerEU: 1
; NumVGPRsForWavesPerEU: 1
; Occupancy: 16
; WaveLimiterHint : 0
; COMPUTE_PGM_RSRC2:SCRATCH_EN: 0
; COMPUTE_PGM_RSRC2:USER_SGPR: 6
; COMPUTE_PGM_RSRC2:TRAP_HANDLER: 0
; COMPUTE_PGM_RSRC2:TGID_X_EN: 1
; COMPUTE_PGM_RSRC2:TGID_Y_EN: 0
; COMPUTE_PGM_RSRC2:TGID_Z_EN: 0
; COMPUTE_PGM_RSRC2:TIDIG_COMP_CNT: 0
	.section	.text._ZN7rocprim17ROCPRIM_400000_NS6detail17trampoline_kernelINS0_14default_configENS1_29reduce_by_key_config_selectorIiiN6thrust23THRUST_200600_302600_NS4plusIiEEEEZZNS1_33reduce_by_key_impl_wrapped_configILNS1_25lookback_scan_determinismE0ES3_S9_NS6_18transform_iteratorI25linear_index_to_row_indexIiENS6_17counting_iteratorIiNS6_11use_defaultESG_SG_EESG_SG_EENS6_6detail15normal_iteratorINS6_10device_ptrIiEEEESN_SN_PmS8_NS6_8equal_toIiEEEE10hipError_tPvRmT2_T3_mT4_T5_T6_T7_T8_P12ihipStream_tbENKUlT_T0_E_clISt17integral_constantIbLb1EES17_IbLb0EEEEDaS13_S14_EUlS13_E_NS1_11comp_targetILNS1_3genE2ELNS1_11target_archE906ELNS1_3gpuE6ELNS1_3repE0EEENS1_30default_config_static_selectorELNS0_4arch9wavefront6targetE0EEEvT1_,"axG",@progbits,_ZN7rocprim17ROCPRIM_400000_NS6detail17trampoline_kernelINS0_14default_configENS1_29reduce_by_key_config_selectorIiiN6thrust23THRUST_200600_302600_NS4plusIiEEEEZZNS1_33reduce_by_key_impl_wrapped_configILNS1_25lookback_scan_determinismE0ES3_S9_NS6_18transform_iteratorI25linear_index_to_row_indexIiENS6_17counting_iteratorIiNS6_11use_defaultESG_SG_EESG_SG_EENS6_6detail15normal_iteratorINS6_10device_ptrIiEEEESN_SN_PmS8_NS6_8equal_toIiEEEE10hipError_tPvRmT2_T3_mT4_T5_T6_T7_T8_P12ihipStream_tbENKUlT_T0_E_clISt17integral_constantIbLb1EES17_IbLb0EEEEDaS13_S14_EUlS13_E_NS1_11comp_targetILNS1_3genE2ELNS1_11target_archE906ELNS1_3gpuE6ELNS1_3repE0EEENS1_30default_config_static_selectorELNS0_4arch9wavefront6targetE0EEEvT1_,comdat
	.protected	_ZN7rocprim17ROCPRIM_400000_NS6detail17trampoline_kernelINS0_14default_configENS1_29reduce_by_key_config_selectorIiiN6thrust23THRUST_200600_302600_NS4plusIiEEEEZZNS1_33reduce_by_key_impl_wrapped_configILNS1_25lookback_scan_determinismE0ES3_S9_NS6_18transform_iteratorI25linear_index_to_row_indexIiENS6_17counting_iteratorIiNS6_11use_defaultESG_SG_EESG_SG_EENS6_6detail15normal_iteratorINS6_10device_ptrIiEEEESN_SN_PmS8_NS6_8equal_toIiEEEE10hipError_tPvRmT2_T3_mT4_T5_T6_T7_T8_P12ihipStream_tbENKUlT_T0_E_clISt17integral_constantIbLb1EES17_IbLb0EEEEDaS13_S14_EUlS13_E_NS1_11comp_targetILNS1_3genE2ELNS1_11target_archE906ELNS1_3gpuE6ELNS1_3repE0EEENS1_30default_config_static_selectorELNS0_4arch9wavefront6targetE0EEEvT1_ ; -- Begin function _ZN7rocprim17ROCPRIM_400000_NS6detail17trampoline_kernelINS0_14default_configENS1_29reduce_by_key_config_selectorIiiN6thrust23THRUST_200600_302600_NS4plusIiEEEEZZNS1_33reduce_by_key_impl_wrapped_configILNS1_25lookback_scan_determinismE0ES3_S9_NS6_18transform_iteratorI25linear_index_to_row_indexIiENS6_17counting_iteratorIiNS6_11use_defaultESG_SG_EESG_SG_EENS6_6detail15normal_iteratorINS6_10device_ptrIiEEEESN_SN_PmS8_NS6_8equal_toIiEEEE10hipError_tPvRmT2_T3_mT4_T5_T6_T7_T8_P12ihipStream_tbENKUlT_T0_E_clISt17integral_constantIbLb1EES17_IbLb0EEEEDaS13_S14_EUlS13_E_NS1_11comp_targetILNS1_3genE2ELNS1_11target_archE906ELNS1_3gpuE6ELNS1_3repE0EEENS1_30default_config_static_selectorELNS0_4arch9wavefront6targetE0EEEvT1_
	.globl	_ZN7rocprim17ROCPRIM_400000_NS6detail17trampoline_kernelINS0_14default_configENS1_29reduce_by_key_config_selectorIiiN6thrust23THRUST_200600_302600_NS4plusIiEEEEZZNS1_33reduce_by_key_impl_wrapped_configILNS1_25lookback_scan_determinismE0ES3_S9_NS6_18transform_iteratorI25linear_index_to_row_indexIiENS6_17counting_iteratorIiNS6_11use_defaultESG_SG_EESG_SG_EENS6_6detail15normal_iteratorINS6_10device_ptrIiEEEESN_SN_PmS8_NS6_8equal_toIiEEEE10hipError_tPvRmT2_T3_mT4_T5_T6_T7_T8_P12ihipStream_tbENKUlT_T0_E_clISt17integral_constantIbLb1EES17_IbLb0EEEEDaS13_S14_EUlS13_E_NS1_11comp_targetILNS1_3genE2ELNS1_11target_archE906ELNS1_3gpuE6ELNS1_3repE0EEENS1_30default_config_static_selectorELNS0_4arch9wavefront6targetE0EEEvT1_
	.p2align	8
	.type	_ZN7rocprim17ROCPRIM_400000_NS6detail17trampoline_kernelINS0_14default_configENS1_29reduce_by_key_config_selectorIiiN6thrust23THRUST_200600_302600_NS4plusIiEEEEZZNS1_33reduce_by_key_impl_wrapped_configILNS1_25lookback_scan_determinismE0ES3_S9_NS6_18transform_iteratorI25linear_index_to_row_indexIiENS6_17counting_iteratorIiNS6_11use_defaultESG_SG_EESG_SG_EENS6_6detail15normal_iteratorINS6_10device_ptrIiEEEESN_SN_PmS8_NS6_8equal_toIiEEEE10hipError_tPvRmT2_T3_mT4_T5_T6_T7_T8_P12ihipStream_tbENKUlT_T0_E_clISt17integral_constantIbLb1EES17_IbLb0EEEEDaS13_S14_EUlS13_E_NS1_11comp_targetILNS1_3genE2ELNS1_11target_archE906ELNS1_3gpuE6ELNS1_3repE0EEENS1_30default_config_static_selectorELNS0_4arch9wavefront6targetE0EEEvT1_,@function
_ZN7rocprim17ROCPRIM_400000_NS6detail17trampoline_kernelINS0_14default_configENS1_29reduce_by_key_config_selectorIiiN6thrust23THRUST_200600_302600_NS4plusIiEEEEZZNS1_33reduce_by_key_impl_wrapped_configILNS1_25lookback_scan_determinismE0ES3_S9_NS6_18transform_iteratorI25linear_index_to_row_indexIiENS6_17counting_iteratorIiNS6_11use_defaultESG_SG_EESG_SG_EENS6_6detail15normal_iteratorINS6_10device_ptrIiEEEESN_SN_PmS8_NS6_8equal_toIiEEEE10hipError_tPvRmT2_T3_mT4_T5_T6_T7_T8_P12ihipStream_tbENKUlT_T0_E_clISt17integral_constantIbLb1EES17_IbLb0EEEEDaS13_S14_EUlS13_E_NS1_11comp_targetILNS1_3genE2ELNS1_11target_archE906ELNS1_3gpuE6ELNS1_3repE0EEENS1_30default_config_static_selectorELNS0_4arch9wavefront6targetE0EEEvT1_: ; @_ZN7rocprim17ROCPRIM_400000_NS6detail17trampoline_kernelINS0_14default_configENS1_29reduce_by_key_config_selectorIiiN6thrust23THRUST_200600_302600_NS4plusIiEEEEZZNS1_33reduce_by_key_impl_wrapped_configILNS1_25lookback_scan_determinismE0ES3_S9_NS6_18transform_iteratorI25linear_index_to_row_indexIiENS6_17counting_iteratorIiNS6_11use_defaultESG_SG_EESG_SG_EENS6_6detail15normal_iteratorINS6_10device_ptrIiEEEESN_SN_PmS8_NS6_8equal_toIiEEEE10hipError_tPvRmT2_T3_mT4_T5_T6_T7_T8_P12ihipStream_tbENKUlT_T0_E_clISt17integral_constantIbLb1EES17_IbLb0EEEEDaS13_S14_EUlS13_E_NS1_11comp_targetILNS1_3genE2ELNS1_11target_archE906ELNS1_3gpuE6ELNS1_3repE0EEENS1_30default_config_static_selectorELNS0_4arch9wavefront6targetE0EEEvT1_
; %bb.0:
	.section	.rodata,"a",@progbits
	.p2align	6, 0x0
	.amdhsa_kernel _ZN7rocprim17ROCPRIM_400000_NS6detail17trampoline_kernelINS0_14default_configENS1_29reduce_by_key_config_selectorIiiN6thrust23THRUST_200600_302600_NS4plusIiEEEEZZNS1_33reduce_by_key_impl_wrapped_configILNS1_25lookback_scan_determinismE0ES3_S9_NS6_18transform_iteratorI25linear_index_to_row_indexIiENS6_17counting_iteratorIiNS6_11use_defaultESG_SG_EESG_SG_EENS6_6detail15normal_iteratorINS6_10device_ptrIiEEEESN_SN_PmS8_NS6_8equal_toIiEEEE10hipError_tPvRmT2_T3_mT4_T5_T6_T7_T8_P12ihipStream_tbENKUlT_T0_E_clISt17integral_constantIbLb1EES17_IbLb0EEEEDaS13_S14_EUlS13_E_NS1_11comp_targetILNS1_3genE2ELNS1_11target_archE906ELNS1_3gpuE6ELNS1_3repE0EEENS1_30default_config_static_selectorELNS0_4arch9wavefront6targetE0EEEvT1_
		.amdhsa_group_segment_fixed_size 0
		.amdhsa_private_segment_fixed_size 0
		.amdhsa_kernarg_size 120
		.amdhsa_user_sgpr_count 6
		.amdhsa_user_sgpr_private_segment_buffer 1
		.amdhsa_user_sgpr_dispatch_ptr 0
		.amdhsa_user_sgpr_queue_ptr 0
		.amdhsa_user_sgpr_kernarg_segment_ptr 1
		.amdhsa_user_sgpr_dispatch_id 0
		.amdhsa_user_sgpr_flat_scratch_init 0
		.amdhsa_user_sgpr_private_segment_size 0
		.amdhsa_wavefront_size32 1
		.amdhsa_uses_dynamic_stack 0
		.amdhsa_system_sgpr_private_segment_wavefront_offset 0
		.amdhsa_system_sgpr_workgroup_id_x 1
		.amdhsa_system_sgpr_workgroup_id_y 0
		.amdhsa_system_sgpr_workgroup_id_z 0
		.amdhsa_system_sgpr_workgroup_info 0
		.amdhsa_system_vgpr_workitem_id 0
		.amdhsa_next_free_vgpr 1
		.amdhsa_next_free_sgpr 1
		.amdhsa_reserve_vcc 0
		.amdhsa_reserve_flat_scratch 0
		.amdhsa_float_round_mode_32 0
		.amdhsa_float_round_mode_16_64 0
		.amdhsa_float_denorm_mode_32 3
		.amdhsa_float_denorm_mode_16_64 3
		.amdhsa_dx10_clamp 1
		.amdhsa_ieee_mode 1
		.amdhsa_fp16_overflow 0
		.amdhsa_workgroup_processor_mode 1
		.amdhsa_memory_ordered 1
		.amdhsa_forward_progress 1
		.amdhsa_shared_vgpr_count 0
		.amdhsa_exception_fp_ieee_invalid_op 0
		.amdhsa_exception_fp_denorm_src 0
		.amdhsa_exception_fp_ieee_div_zero 0
		.amdhsa_exception_fp_ieee_overflow 0
		.amdhsa_exception_fp_ieee_underflow 0
		.amdhsa_exception_fp_ieee_inexact 0
		.amdhsa_exception_int_div_zero 0
	.end_amdhsa_kernel
	.section	.text._ZN7rocprim17ROCPRIM_400000_NS6detail17trampoline_kernelINS0_14default_configENS1_29reduce_by_key_config_selectorIiiN6thrust23THRUST_200600_302600_NS4plusIiEEEEZZNS1_33reduce_by_key_impl_wrapped_configILNS1_25lookback_scan_determinismE0ES3_S9_NS6_18transform_iteratorI25linear_index_to_row_indexIiENS6_17counting_iteratorIiNS6_11use_defaultESG_SG_EESG_SG_EENS6_6detail15normal_iteratorINS6_10device_ptrIiEEEESN_SN_PmS8_NS6_8equal_toIiEEEE10hipError_tPvRmT2_T3_mT4_T5_T6_T7_T8_P12ihipStream_tbENKUlT_T0_E_clISt17integral_constantIbLb1EES17_IbLb0EEEEDaS13_S14_EUlS13_E_NS1_11comp_targetILNS1_3genE2ELNS1_11target_archE906ELNS1_3gpuE6ELNS1_3repE0EEENS1_30default_config_static_selectorELNS0_4arch9wavefront6targetE0EEEvT1_,"axG",@progbits,_ZN7rocprim17ROCPRIM_400000_NS6detail17trampoline_kernelINS0_14default_configENS1_29reduce_by_key_config_selectorIiiN6thrust23THRUST_200600_302600_NS4plusIiEEEEZZNS1_33reduce_by_key_impl_wrapped_configILNS1_25lookback_scan_determinismE0ES3_S9_NS6_18transform_iteratorI25linear_index_to_row_indexIiENS6_17counting_iteratorIiNS6_11use_defaultESG_SG_EESG_SG_EENS6_6detail15normal_iteratorINS6_10device_ptrIiEEEESN_SN_PmS8_NS6_8equal_toIiEEEE10hipError_tPvRmT2_T3_mT4_T5_T6_T7_T8_P12ihipStream_tbENKUlT_T0_E_clISt17integral_constantIbLb1EES17_IbLb0EEEEDaS13_S14_EUlS13_E_NS1_11comp_targetILNS1_3genE2ELNS1_11target_archE906ELNS1_3gpuE6ELNS1_3repE0EEENS1_30default_config_static_selectorELNS0_4arch9wavefront6targetE0EEEvT1_,comdat
.Lfunc_end35:
	.size	_ZN7rocprim17ROCPRIM_400000_NS6detail17trampoline_kernelINS0_14default_configENS1_29reduce_by_key_config_selectorIiiN6thrust23THRUST_200600_302600_NS4plusIiEEEEZZNS1_33reduce_by_key_impl_wrapped_configILNS1_25lookback_scan_determinismE0ES3_S9_NS6_18transform_iteratorI25linear_index_to_row_indexIiENS6_17counting_iteratorIiNS6_11use_defaultESG_SG_EESG_SG_EENS6_6detail15normal_iteratorINS6_10device_ptrIiEEEESN_SN_PmS8_NS6_8equal_toIiEEEE10hipError_tPvRmT2_T3_mT4_T5_T6_T7_T8_P12ihipStream_tbENKUlT_T0_E_clISt17integral_constantIbLb1EES17_IbLb0EEEEDaS13_S14_EUlS13_E_NS1_11comp_targetILNS1_3genE2ELNS1_11target_archE906ELNS1_3gpuE6ELNS1_3repE0EEENS1_30default_config_static_selectorELNS0_4arch9wavefront6targetE0EEEvT1_, .Lfunc_end35-_ZN7rocprim17ROCPRIM_400000_NS6detail17trampoline_kernelINS0_14default_configENS1_29reduce_by_key_config_selectorIiiN6thrust23THRUST_200600_302600_NS4plusIiEEEEZZNS1_33reduce_by_key_impl_wrapped_configILNS1_25lookback_scan_determinismE0ES3_S9_NS6_18transform_iteratorI25linear_index_to_row_indexIiENS6_17counting_iteratorIiNS6_11use_defaultESG_SG_EESG_SG_EENS6_6detail15normal_iteratorINS6_10device_ptrIiEEEESN_SN_PmS8_NS6_8equal_toIiEEEE10hipError_tPvRmT2_T3_mT4_T5_T6_T7_T8_P12ihipStream_tbENKUlT_T0_E_clISt17integral_constantIbLb1EES17_IbLb0EEEEDaS13_S14_EUlS13_E_NS1_11comp_targetILNS1_3genE2ELNS1_11target_archE906ELNS1_3gpuE6ELNS1_3repE0EEENS1_30default_config_static_selectorELNS0_4arch9wavefront6targetE0EEEvT1_
                                        ; -- End function
	.set _ZN7rocprim17ROCPRIM_400000_NS6detail17trampoline_kernelINS0_14default_configENS1_29reduce_by_key_config_selectorIiiN6thrust23THRUST_200600_302600_NS4plusIiEEEEZZNS1_33reduce_by_key_impl_wrapped_configILNS1_25lookback_scan_determinismE0ES3_S9_NS6_18transform_iteratorI25linear_index_to_row_indexIiENS6_17counting_iteratorIiNS6_11use_defaultESG_SG_EESG_SG_EENS6_6detail15normal_iteratorINS6_10device_ptrIiEEEESN_SN_PmS8_NS6_8equal_toIiEEEE10hipError_tPvRmT2_T3_mT4_T5_T6_T7_T8_P12ihipStream_tbENKUlT_T0_E_clISt17integral_constantIbLb1EES17_IbLb0EEEEDaS13_S14_EUlS13_E_NS1_11comp_targetILNS1_3genE2ELNS1_11target_archE906ELNS1_3gpuE6ELNS1_3repE0EEENS1_30default_config_static_selectorELNS0_4arch9wavefront6targetE0EEEvT1_.num_vgpr, 0
	.set _ZN7rocprim17ROCPRIM_400000_NS6detail17trampoline_kernelINS0_14default_configENS1_29reduce_by_key_config_selectorIiiN6thrust23THRUST_200600_302600_NS4plusIiEEEEZZNS1_33reduce_by_key_impl_wrapped_configILNS1_25lookback_scan_determinismE0ES3_S9_NS6_18transform_iteratorI25linear_index_to_row_indexIiENS6_17counting_iteratorIiNS6_11use_defaultESG_SG_EESG_SG_EENS6_6detail15normal_iteratorINS6_10device_ptrIiEEEESN_SN_PmS8_NS6_8equal_toIiEEEE10hipError_tPvRmT2_T3_mT4_T5_T6_T7_T8_P12ihipStream_tbENKUlT_T0_E_clISt17integral_constantIbLb1EES17_IbLb0EEEEDaS13_S14_EUlS13_E_NS1_11comp_targetILNS1_3genE2ELNS1_11target_archE906ELNS1_3gpuE6ELNS1_3repE0EEENS1_30default_config_static_selectorELNS0_4arch9wavefront6targetE0EEEvT1_.num_agpr, 0
	.set _ZN7rocprim17ROCPRIM_400000_NS6detail17trampoline_kernelINS0_14default_configENS1_29reduce_by_key_config_selectorIiiN6thrust23THRUST_200600_302600_NS4plusIiEEEEZZNS1_33reduce_by_key_impl_wrapped_configILNS1_25lookback_scan_determinismE0ES3_S9_NS6_18transform_iteratorI25linear_index_to_row_indexIiENS6_17counting_iteratorIiNS6_11use_defaultESG_SG_EESG_SG_EENS6_6detail15normal_iteratorINS6_10device_ptrIiEEEESN_SN_PmS8_NS6_8equal_toIiEEEE10hipError_tPvRmT2_T3_mT4_T5_T6_T7_T8_P12ihipStream_tbENKUlT_T0_E_clISt17integral_constantIbLb1EES17_IbLb0EEEEDaS13_S14_EUlS13_E_NS1_11comp_targetILNS1_3genE2ELNS1_11target_archE906ELNS1_3gpuE6ELNS1_3repE0EEENS1_30default_config_static_selectorELNS0_4arch9wavefront6targetE0EEEvT1_.numbered_sgpr, 0
	.set _ZN7rocprim17ROCPRIM_400000_NS6detail17trampoline_kernelINS0_14default_configENS1_29reduce_by_key_config_selectorIiiN6thrust23THRUST_200600_302600_NS4plusIiEEEEZZNS1_33reduce_by_key_impl_wrapped_configILNS1_25lookback_scan_determinismE0ES3_S9_NS6_18transform_iteratorI25linear_index_to_row_indexIiENS6_17counting_iteratorIiNS6_11use_defaultESG_SG_EESG_SG_EENS6_6detail15normal_iteratorINS6_10device_ptrIiEEEESN_SN_PmS8_NS6_8equal_toIiEEEE10hipError_tPvRmT2_T3_mT4_T5_T6_T7_T8_P12ihipStream_tbENKUlT_T0_E_clISt17integral_constantIbLb1EES17_IbLb0EEEEDaS13_S14_EUlS13_E_NS1_11comp_targetILNS1_3genE2ELNS1_11target_archE906ELNS1_3gpuE6ELNS1_3repE0EEENS1_30default_config_static_selectorELNS0_4arch9wavefront6targetE0EEEvT1_.num_named_barrier, 0
	.set _ZN7rocprim17ROCPRIM_400000_NS6detail17trampoline_kernelINS0_14default_configENS1_29reduce_by_key_config_selectorIiiN6thrust23THRUST_200600_302600_NS4plusIiEEEEZZNS1_33reduce_by_key_impl_wrapped_configILNS1_25lookback_scan_determinismE0ES3_S9_NS6_18transform_iteratorI25linear_index_to_row_indexIiENS6_17counting_iteratorIiNS6_11use_defaultESG_SG_EESG_SG_EENS6_6detail15normal_iteratorINS6_10device_ptrIiEEEESN_SN_PmS8_NS6_8equal_toIiEEEE10hipError_tPvRmT2_T3_mT4_T5_T6_T7_T8_P12ihipStream_tbENKUlT_T0_E_clISt17integral_constantIbLb1EES17_IbLb0EEEEDaS13_S14_EUlS13_E_NS1_11comp_targetILNS1_3genE2ELNS1_11target_archE906ELNS1_3gpuE6ELNS1_3repE0EEENS1_30default_config_static_selectorELNS0_4arch9wavefront6targetE0EEEvT1_.private_seg_size, 0
	.set _ZN7rocprim17ROCPRIM_400000_NS6detail17trampoline_kernelINS0_14default_configENS1_29reduce_by_key_config_selectorIiiN6thrust23THRUST_200600_302600_NS4plusIiEEEEZZNS1_33reduce_by_key_impl_wrapped_configILNS1_25lookback_scan_determinismE0ES3_S9_NS6_18transform_iteratorI25linear_index_to_row_indexIiENS6_17counting_iteratorIiNS6_11use_defaultESG_SG_EESG_SG_EENS6_6detail15normal_iteratorINS6_10device_ptrIiEEEESN_SN_PmS8_NS6_8equal_toIiEEEE10hipError_tPvRmT2_T3_mT4_T5_T6_T7_T8_P12ihipStream_tbENKUlT_T0_E_clISt17integral_constantIbLb1EES17_IbLb0EEEEDaS13_S14_EUlS13_E_NS1_11comp_targetILNS1_3genE2ELNS1_11target_archE906ELNS1_3gpuE6ELNS1_3repE0EEENS1_30default_config_static_selectorELNS0_4arch9wavefront6targetE0EEEvT1_.uses_vcc, 0
	.set _ZN7rocprim17ROCPRIM_400000_NS6detail17trampoline_kernelINS0_14default_configENS1_29reduce_by_key_config_selectorIiiN6thrust23THRUST_200600_302600_NS4plusIiEEEEZZNS1_33reduce_by_key_impl_wrapped_configILNS1_25lookback_scan_determinismE0ES3_S9_NS6_18transform_iteratorI25linear_index_to_row_indexIiENS6_17counting_iteratorIiNS6_11use_defaultESG_SG_EESG_SG_EENS6_6detail15normal_iteratorINS6_10device_ptrIiEEEESN_SN_PmS8_NS6_8equal_toIiEEEE10hipError_tPvRmT2_T3_mT4_T5_T6_T7_T8_P12ihipStream_tbENKUlT_T0_E_clISt17integral_constantIbLb1EES17_IbLb0EEEEDaS13_S14_EUlS13_E_NS1_11comp_targetILNS1_3genE2ELNS1_11target_archE906ELNS1_3gpuE6ELNS1_3repE0EEENS1_30default_config_static_selectorELNS0_4arch9wavefront6targetE0EEEvT1_.uses_flat_scratch, 0
	.set _ZN7rocprim17ROCPRIM_400000_NS6detail17trampoline_kernelINS0_14default_configENS1_29reduce_by_key_config_selectorIiiN6thrust23THRUST_200600_302600_NS4plusIiEEEEZZNS1_33reduce_by_key_impl_wrapped_configILNS1_25lookback_scan_determinismE0ES3_S9_NS6_18transform_iteratorI25linear_index_to_row_indexIiENS6_17counting_iteratorIiNS6_11use_defaultESG_SG_EESG_SG_EENS6_6detail15normal_iteratorINS6_10device_ptrIiEEEESN_SN_PmS8_NS6_8equal_toIiEEEE10hipError_tPvRmT2_T3_mT4_T5_T6_T7_T8_P12ihipStream_tbENKUlT_T0_E_clISt17integral_constantIbLb1EES17_IbLb0EEEEDaS13_S14_EUlS13_E_NS1_11comp_targetILNS1_3genE2ELNS1_11target_archE906ELNS1_3gpuE6ELNS1_3repE0EEENS1_30default_config_static_selectorELNS0_4arch9wavefront6targetE0EEEvT1_.has_dyn_sized_stack, 0
	.set _ZN7rocprim17ROCPRIM_400000_NS6detail17trampoline_kernelINS0_14default_configENS1_29reduce_by_key_config_selectorIiiN6thrust23THRUST_200600_302600_NS4plusIiEEEEZZNS1_33reduce_by_key_impl_wrapped_configILNS1_25lookback_scan_determinismE0ES3_S9_NS6_18transform_iteratorI25linear_index_to_row_indexIiENS6_17counting_iteratorIiNS6_11use_defaultESG_SG_EESG_SG_EENS6_6detail15normal_iteratorINS6_10device_ptrIiEEEESN_SN_PmS8_NS6_8equal_toIiEEEE10hipError_tPvRmT2_T3_mT4_T5_T6_T7_T8_P12ihipStream_tbENKUlT_T0_E_clISt17integral_constantIbLb1EES17_IbLb0EEEEDaS13_S14_EUlS13_E_NS1_11comp_targetILNS1_3genE2ELNS1_11target_archE906ELNS1_3gpuE6ELNS1_3repE0EEENS1_30default_config_static_selectorELNS0_4arch9wavefront6targetE0EEEvT1_.has_recursion, 0
	.set _ZN7rocprim17ROCPRIM_400000_NS6detail17trampoline_kernelINS0_14default_configENS1_29reduce_by_key_config_selectorIiiN6thrust23THRUST_200600_302600_NS4plusIiEEEEZZNS1_33reduce_by_key_impl_wrapped_configILNS1_25lookback_scan_determinismE0ES3_S9_NS6_18transform_iteratorI25linear_index_to_row_indexIiENS6_17counting_iteratorIiNS6_11use_defaultESG_SG_EESG_SG_EENS6_6detail15normal_iteratorINS6_10device_ptrIiEEEESN_SN_PmS8_NS6_8equal_toIiEEEE10hipError_tPvRmT2_T3_mT4_T5_T6_T7_T8_P12ihipStream_tbENKUlT_T0_E_clISt17integral_constantIbLb1EES17_IbLb0EEEEDaS13_S14_EUlS13_E_NS1_11comp_targetILNS1_3genE2ELNS1_11target_archE906ELNS1_3gpuE6ELNS1_3repE0EEENS1_30default_config_static_selectorELNS0_4arch9wavefront6targetE0EEEvT1_.has_indirect_call, 0
	.section	.AMDGPU.csdata,"",@progbits
; Kernel info:
; codeLenInByte = 0
; TotalNumSgprs: 0
; NumVgprs: 0
; ScratchSize: 0
; MemoryBound: 0
; FloatMode: 240
; IeeeMode: 1
; LDSByteSize: 0 bytes/workgroup (compile time only)
; SGPRBlocks: 0
; VGPRBlocks: 0
; NumSGPRsForWavesPerEU: 1
; NumVGPRsForWavesPerEU: 1
; Occupancy: 16
; WaveLimiterHint : 0
; COMPUTE_PGM_RSRC2:SCRATCH_EN: 0
; COMPUTE_PGM_RSRC2:USER_SGPR: 6
; COMPUTE_PGM_RSRC2:TRAP_HANDLER: 0
; COMPUTE_PGM_RSRC2:TGID_X_EN: 1
; COMPUTE_PGM_RSRC2:TGID_Y_EN: 0
; COMPUTE_PGM_RSRC2:TGID_Z_EN: 0
; COMPUTE_PGM_RSRC2:TIDIG_COMP_CNT: 0
	.section	.text._ZN7rocprim17ROCPRIM_400000_NS6detail17trampoline_kernelINS0_14default_configENS1_29reduce_by_key_config_selectorIiiN6thrust23THRUST_200600_302600_NS4plusIiEEEEZZNS1_33reduce_by_key_impl_wrapped_configILNS1_25lookback_scan_determinismE0ES3_S9_NS6_18transform_iteratorI25linear_index_to_row_indexIiENS6_17counting_iteratorIiNS6_11use_defaultESG_SG_EESG_SG_EENS6_6detail15normal_iteratorINS6_10device_ptrIiEEEESN_SN_PmS8_NS6_8equal_toIiEEEE10hipError_tPvRmT2_T3_mT4_T5_T6_T7_T8_P12ihipStream_tbENKUlT_T0_E_clISt17integral_constantIbLb1EES17_IbLb0EEEEDaS13_S14_EUlS13_E_NS1_11comp_targetILNS1_3genE10ELNS1_11target_archE1201ELNS1_3gpuE5ELNS1_3repE0EEENS1_30default_config_static_selectorELNS0_4arch9wavefront6targetE0EEEvT1_,"axG",@progbits,_ZN7rocprim17ROCPRIM_400000_NS6detail17trampoline_kernelINS0_14default_configENS1_29reduce_by_key_config_selectorIiiN6thrust23THRUST_200600_302600_NS4plusIiEEEEZZNS1_33reduce_by_key_impl_wrapped_configILNS1_25lookback_scan_determinismE0ES3_S9_NS6_18transform_iteratorI25linear_index_to_row_indexIiENS6_17counting_iteratorIiNS6_11use_defaultESG_SG_EESG_SG_EENS6_6detail15normal_iteratorINS6_10device_ptrIiEEEESN_SN_PmS8_NS6_8equal_toIiEEEE10hipError_tPvRmT2_T3_mT4_T5_T6_T7_T8_P12ihipStream_tbENKUlT_T0_E_clISt17integral_constantIbLb1EES17_IbLb0EEEEDaS13_S14_EUlS13_E_NS1_11comp_targetILNS1_3genE10ELNS1_11target_archE1201ELNS1_3gpuE5ELNS1_3repE0EEENS1_30default_config_static_selectorELNS0_4arch9wavefront6targetE0EEEvT1_,comdat
	.protected	_ZN7rocprim17ROCPRIM_400000_NS6detail17trampoline_kernelINS0_14default_configENS1_29reduce_by_key_config_selectorIiiN6thrust23THRUST_200600_302600_NS4plusIiEEEEZZNS1_33reduce_by_key_impl_wrapped_configILNS1_25lookback_scan_determinismE0ES3_S9_NS6_18transform_iteratorI25linear_index_to_row_indexIiENS6_17counting_iteratorIiNS6_11use_defaultESG_SG_EESG_SG_EENS6_6detail15normal_iteratorINS6_10device_ptrIiEEEESN_SN_PmS8_NS6_8equal_toIiEEEE10hipError_tPvRmT2_T3_mT4_T5_T6_T7_T8_P12ihipStream_tbENKUlT_T0_E_clISt17integral_constantIbLb1EES17_IbLb0EEEEDaS13_S14_EUlS13_E_NS1_11comp_targetILNS1_3genE10ELNS1_11target_archE1201ELNS1_3gpuE5ELNS1_3repE0EEENS1_30default_config_static_selectorELNS0_4arch9wavefront6targetE0EEEvT1_ ; -- Begin function _ZN7rocprim17ROCPRIM_400000_NS6detail17trampoline_kernelINS0_14default_configENS1_29reduce_by_key_config_selectorIiiN6thrust23THRUST_200600_302600_NS4plusIiEEEEZZNS1_33reduce_by_key_impl_wrapped_configILNS1_25lookback_scan_determinismE0ES3_S9_NS6_18transform_iteratorI25linear_index_to_row_indexIiENS6_17counting_iteratorIiNS6_11use_defaultESG_SG_EESG_SG_EENS6_6detail15normal_iteratorINS6_10device_ptrIiEEEESN_SN_PmS8_NS6_8equal_toIiEEEE10hipError_tPvRmT2_T3_mT4_T5_T6_T7_T8_P12ihipStream_tbENKUlT_T0_E_clISt17integral_constantIbLb1EES17_IbLb0EEEEDaS13_S14_EUlS13_E_NS1_11comp_targetILNS1_3genE10ELNS1_11target_archE1201ELNS1_3gpuE5ELNS1_3repE0EEENS1_30default_config_static_selectorELNS0_4arch9wavefront6targetE0EEEvT1_
	.globl	_ZN7rocprim17ROCPRIM_400000_NS6detail17trampoline_kernelINS0_14default_configENS1_29reduce_by_key_config_selectorIiiN6thrust23THRUST_200600_302600_NS4plusIiEEEEZZNS1_33reduce_by_key_impl_wrapped_configILNS1_25lookback_scan_determinismE0ES3_S9_NS6_18transform_iteratorI25linear_index_to_row_indexIiENS6_17counting_iteratorIiNS6_11use_defaultESG_SG_EESG_SG_EENS6_6detail15normal_iteratorINS6_10device_ptrIiEEEESN_SN_PmS8_NS6_8equal_toIiEEEE10hipError_tPvRmT2_T3_mT4_T5_T6_T7_T8_P12ihipStream_tbENKUlT_T0_E_clISt17integral_constantIbLb1EES17_IbLb0EEEEDaS13_S14_EUlS13_E_NS1_11comp_targetILNS1_3genE10ELNS1_11target_archE1201ELNS1_3gpuE5ELNS1_3repE0EEENS1_30default_config_static_selectorELNS0_4arch9wavefront6targetE0EEEvT1_
	.p2align	8
	.type	_ZN7rocprim17ROCPRIM_400000_NS6detail17trampoline_kernelINS0_14default_configENS1_29reduce_by_key_config_selectorIiiN6thrust23THRUST_200600_302600_NS4plusIiEEEEZZNS1_33reduce_by_key_impl_wrapped_configILNS1_25lookback_scan_determinismE0ES3_S9_NS6_18transform_iteratorI25linear_index_to_row_indexIiENS6_17counting_iteratorIiNS6_11use_defaultESG_SG_EESG_SG_EENS6_6detail15normal_iteratorINS6_10device_ptrIiEEEESN_SN_PmS8_NS6_8equal_toIiEEEE10hipError_tPvRmT2_T3_mT4_T5_T6_T7_T8_P12ihipStream_tbENKUlT_T0_E_clISt17integral_constantIbLb1EES17_IbLb0EEEEDaS13_S14_EUlS13_E_NS1_11comp_targetILNS1_3genE10ELNS1_11target_archE1201ELNS1_3gpuE5ELNS1_3repE0EEENS1_30default_config_static_selectorELNS0_4arch9wavefront6targetE0EEEvT1_,@function
_ZN7rocprim17ROCPRIM_400000_NS6detail17trampoline_kernelINS0_14default_configENS1_29reduce_by_key_config_selectorIiiN6thrust23THRUST_200600_302600_NS4plusIiEEEEZZNS1_33reduce_by_key_impl_wrapped_configILNS1_25lookback_scan_determinismE0ES3_S9_NS6_18transform_iteratorI25linear_index_to_row_indexIiENS6_17counting_iteratorIiNS6_11use_defaultESG_SG_EESG_SG_EENS6_6detail15normal_iteratorINS6_10device_ptrIiEEEESN_SN_PmS8_NS6_8equal_toIiEEEE10hipError_tPvRmT2_T3_mT4_T5_T6_T7_T8_P12ihipStream_tbENKUlT_T0_E_clISt17integral_constantIbLb1EES17_IbLb0EEEEDaS13_S14_EUlS13_E_NS1_11comp_targetILNS1_3genE10ELNS1_11target_archE1201ELNS1_3gpuE5ELNS1_3repE0EEENS1_30default_config_static_selectorELNS0_4arch9wavefront6targetE0EEEvT1_: ; @_ZN7rocprim17ROCPRIM_400000_NS6detail17trampoline_kernelINS0_14default_configENS1_29reduce_by_key_config_selectorIiiN6thrust23THRUST_200600_302600_NS4plusIiEEEEZZNS1_33reduce_by_key_impl_wrapped_configILNS1_25lookback_scan_determinismE0ES3_S9_NS6_18transform_iteratorI25linear_index_to_row_indexIiENS6_17counting_iteratorIiNS6_11use_defaultESG_SG_EESG_SG_EENS6_6detail15normal_iteratorINS6_10device_ptrIiEEEESN_SN_PmS8_NS6_8equal_toIiEEEE10hipError_tPvRmT2_T3_mT4_T5_T6_T7_T8_P12ihipStream_tbENKUlT_T0_E_clISt17integral_constantIbLb1EES17_IbLb0EEEEDaS13_S14_EUlS13_E_NS1_11comp_targetILNS1_3genE10ELNS1_11target_archE1201ELNS1_3gpuE5ELNS1_3repE0EEENS1_30default_config_static_selectorELNS0_4arch9wavefront6targetE0EEEvT1_
; %bb.0:
	.section	.rodata,"a",@progbits
	.p2align	6, 0x0
	.amdhsa_kernel _ZN7rocprim17ROCPRIM_400000_NS6detail17trampoline_kernelINS0_14default_configENS1_29reduce_by_key_config_selectorIiiN6thrust23THRUST_200600_302600_NS4plusIiEEEEZZNS1_33reduce_by_key_impl_wrapped_configILNS1_25lookback_scan_determinismE0ES3_S9_NS6_18transform_iteratorI25linear_index_to_row_indexIiENS6_17counting_iteratorIiNS6_11use_defaultESG_SG_EESG_SG_EENS6_6detail15normal_iteratorINS6_10device_ptrIiEEEESN_SN_PmS8_NS6_8equal_toIiEEEE10hipError_tPvRmT2_T3_mT4_T5_T6_T7_T8_P12ihipStream_tbENKUlT_T0_E_clISt17integral_constantIbLb1EES17_IbLb0EEEEDaS13_S14_EUlS13_E_NS1_11comp_targetILNS1_3genE10ELNS1_11target_archE1201ELNS1_3gpuE5ELNS1_3repE0EEENS1_30default_config_static_selectorELNS0_4arch9wavefront6targetE0EEEvT1_
		.amdhsa_group_segment_fixed_size 0
		.amdhsa_private_segment_fixed_size 0
		.amdhsa_kernarg_size 120
		.amdhsa_user_sgpr_count 6
		.amdhsa_user_sgpr_private_segment_buffer 1
		.amdhsa_user_sgpr_dispatch_ptr 0
		.amdhsa_user_sgpr_queue_ptr 0
		.amdhsa_user_sgpr_kernarg_segment_ptr 1
		.amdhsa_user_sgpr_dispatch_id 0
		.amdhsa_user_sgpr_flat_scratch_init 0
		.amdhsa_user_sgpr_private_segment_size 0
		.amdhsa_wavefront_size32 1
		.amdhsa_uses_dynamic_stack 0
		.amdhsa_system_sgpr_private_segment_wavefront_offset 0
		.amdhsa_system_sgpr_workgroup_id_x 1
		.amdhsa_system_sgpr_workgroup_id_y 0
		.amdhsa_system_sgpr_workgroup_id_z 0
		.amdhsa_system_sgpr_workgroup_info 0
		.amdhsa_system_vgpr_workitem_id 0
		.amdhsa_next_free_vgpr 1
		.amdhsa_next_free_sgpr 1
		.amdhsa_reserve_vcc 0
		.amdhsa_reserve_flat_scratch 0
		.amdhsa_float_round_mode_32 0
		.amdhsa_float_round_mode_16_64 0
		.amdhsa_float_denorm_mode_32 3
		.amdhsa_float_denorm_mode_16_64 3
		.amdhsa_dx10_clamp 1
		.amdhsa_ieee_mode 1
		.amdhsa_fp16_overflow 0
		.amdhsa_workgroup_processor_mode 1
		.amdhsa_memory_ordered 1
		.amdhsa_forward_progress 1
		.amdhsa_shared_vgpr_count 0
		.amdhsa_exception_fp_ieee_invalid_op 0
		.amdhsa_exception_fp_denorm_src 0
		.amdhsa_exception_fp_ieee_div_zero 0
		.amdhsa_exception_fp_ieee_overflow 0
		.amdhsa_exception_fp_ieee_underflow 0
		.amdhsa_exception_fp_ieee_inexact 0
		.amdhsa_exception_int_div_zero 0
	.end_amdhsa_kernel
	.section	.text._ZN7rocprim17ROCPRIM_400000_NS6detail17trampoline_kernelINS0_14default_configENS1_29reduce_by_key_config_selectorIiiN6thrust23THRUST_200600_302600_NS4plusIiEEEEZZNS1_33reduce_by_key_impl_wrapped_configILNS1_25lookback_scan_determinismE0ES3_S9_NS6_18transform_iteratorI25linear_index_to_row_indexIiENS6_17counting_iteratorIiNS6_11use_defaultESG_SG_EESG_SG_EENS6_6detail15normal_iteratorINS6_10device_ptrIiEEEESN_SN_PmS8_NS6_8equal_toIiEEEE10hipError_tPvRmT2_T3_mT4_T5_T6_T7_T8_P12ihipStream_tbENKUlT_T0_E_clISt17integral_constantIbLb1EES17_IbLb0EEEEDaS13_S14_EUlS13_E_NS1_11comp_targetILNS1_3genE10ELNS1_11target_archE1201ELNS1_3gpuE5ELNS1_3repE0EEENS1_30default_config_static_selectorELNS0_4arch9wavefront6targetE0EEEvT1_,"axG",@progbits,_ZN7rocprim17ROCPRIM_400000_NS6detail17trampoline_kernelINS0_14default_configENS1_29reduce_by_key_config_selectorIiiN6thrust23THRUST_200600_302600_NS4plusIiEEEEZZNS1_33reduce_by_key_impl_wrapped_configILNS1_25lookback_scan_determinismE0ES3_S9_NS6_18transform_iteratorI25linear_index_to_row_indexIiENS6_17counting_iteratorIiNS6_11use_defaultESG_SG_EESG_SG_EENS6_6detail15normal_iteratorINS6_10device_ptrIiEEEESN_SN_PmS8_NS6_8equal_toIiEEEE10hipError_tPvRmT2_T3_mT4_T5_T6_T7_T8_P12ihipStream_tbENKUlT_T0_E_clISt17integral_constantIbLb1EES17_IbLb0EEEEDaS13_S14_EUlS13_E_NS1_11comp_targetILNS1_3genE10ELNS1_11target_archE1201ELNS1_3gpuE5ELNS1_3repE0EEENS1_30default_config_static_selectorELNS0_4arch9wavefront6targetE0EEEvT1_,comdat
.Lfunc_end36:
	.size	_ZN7rocprim17ROCPRIM_400000_NS6detail17trampoline_kernelINS0_14default_configENS1_29reduce_by_key_config_selectorIiiN6thrust23THRUST_200600_302600_NS4plusIiEEEEZZNS1_33reduce_by_key_impl_wrapped_configILNS1_25lookback_scan_determinismE0ES3_S9_NS6_18transform_iteratorI25linear_index_to_row_indexIiENS6_17counting_iteratorIiNS6_11use_defaultESG_SG_EESG_SG_EENS6_6detail15normal_iteratorINS6_10device_ptrIiEEEESN_SN_PmS8_NS6_8equal_toIiEEEE10hipError_tPvRmT2_T3_mT4_T5_T6_T7_T8_P12ihipStream_tbENKUlT_T0_E_clISt17integral_constantIbLb1EES17_IbLb0EEEEDaS13_S14_EUlS13_E_NS1_11comp_targetILNS1_3genE10ELNS1_11target_archE1201ELNS1_3gpuE5ELNS1_3repE0EEENS1_30default_config_static_selectorELNS0_4arch9wavefront6targetE0EEEvT1_, .Lfunc_end36-_ZN7rocprim17ROCPRIM_400000_NS6detail17trampoline_kernelINS0_14default_configENS1_29reduce_by_key_config_selectorIiiN6thrust23THRUST_200600_302600_NS4plusIiEEEEZZNS1_33reduce_by_key_impl_wrapped_configILNS1_25lookback_scan_determinismE0ES3_S9_NS6_18transform_iteratorI25linear_index_to_row_indexIiENS6_17counting_iteratorIiNS6_11use_defaultESG_SG_EESG_SG_EENS6_6detail15normal_iteratorINS6_10device_ptrIiEEEESN_SN_PmS8_NS6_8equal_toIiEEEE10hipError_tPvRmT2_T3_mT4_T5_T6_T7_T8_P12ihipStream_tbENKUlT_T0_E_clISt17integral_constantIbLb1EES17_IbLb0EEEEDaS13_S14_EUlS13_E_NS1_11comp_targetILNS1_3genE10ELNS1_11target_archE1201ELNS1_3gpuE5ELNS1_3repE0EEENS1_30default_config_static_selectorELNS0_4arch9wavefront6targetE0EEEvT1_
                                        ; -- End function
	.set _ZN7rocprim17ROCPRIM_400000_NS6detail17trampoline_kernelINS0_14default_configENS1_29reduce_by_key_config_selectorIiiN6thrust23THRUST_200600_302600_NS4plusIiEEEEZZNS1_33reduce_by_key_impl_wrapped_configILNS1_25lookback_scan_determinismE0ES3_S9_NS6_18transform_iteratorI25linear_index_to_row_indexIiENS6_17counting_iteratorIiNS6_11use_defaultESG_SG_EESG_SG_EENS6_6detail15normal_iteratorINS6_10device_ptrIiEEEESN_SN_PmS8_NS6_8equal_toIiEEEE10hipError_tPvRmT2_T3_mT4_T5_T6_T7_T8_P12ihipStream_tbENKUlT_T0_E_clISt17integral_constantIbLb1EES17_IbLb0EEEEDaS13_S14_EUlS13_E_NS1_11comp_targetILNS1_3genE10ELNS1_11target_archE1201ELNS1_3gpuE5ELNS1_3repE0EEENS1_30default_config_static_selectorELNS0_4arch9wavefront6targetE0EEEvT1_.num_vgpr, 0
	.set _ZN7rocprim17ROCPRIM_400000_NS6detail17trampoline_kernelINS0_14default_configENS1_29reduce_by_key_config_selectorIiiN6thrust23THRUST_200600_302600_NS4plusIiEEEEZZNS1_33reduce_by_key_impl_wrapped_configILNS1_25lookback_scan_determinismE0ES3_S9_NS6_18transform_iteratorI25linear_index_to_row_indexIiENS6_17counting_iteratorIiNS6_11use_defaultESG_SG_EESG_SG_EENS6_6detail15normal_iteratorINS6_10device_ptrIiEEEESN_SN_PmS8_NS6_8equal_toIiEEEE10hipError_tPvRmT2_T3_mT4_T5_T6_T7_T8_P12ihipStream_tbENKUlT_T0_E_clISt17integral_constantIbLb1EES17_IbLb0EEEEDaS13_S14_EUlS13_E_NS1_11comp_targetILNS1_3genE10ELNS1_11target_archE1201ELNS1_3gpuE5ELNS1_3repE0EEENS1_30default_config_static_selectorELNS0_4arch9wavefront6targetE0EEEvT1_.num_agpr, 0
	.set _ZN7rocprim17ROCPRIM_400000_NS6detail17trampoline_kernelINS0_14default_configENS1_29reduce_by_key_config_selectorIiiN6thrust23THRUST_200600_302600_NS4plusIiEEEEZZNS1_33reduce_by_key_impl_wrapped_configILNS1_25lookback_scan_determinismE0ES3_S9_NS6_18transform_iteratorI25linear_index_to_row_indexIiENS6_17counting_iteratorIiNS6_11use_defaultESG_SG_EESG_SG_EENS6_6detail15normal_iteratorINS6_10device_ptrIiEEEESN_SN_PmS8_NS6_8equal_toIiEEEE10hipError_tPvRmT2_T3_mT4_T5_T6_T7_T8_P12ihipStream_tbENKUlT_T0_E_clISt17integral_constantIbLb1EES17_IbLb0EEEEDaS13_S14_EUlS13_E_NS1_11comp_targetILNS1_3genE10ELNS1_11target_archE1201ELNS1_3gpuE5ELNS1_3repE0EEENS1_30default_config_static_selectorELNS0_4arch9wavefront6targetE0EEEvT1_.numbered_sgpr, 0
	.set _ZN7rocprim17ROCPRIM_400000_NS6detail17trampoline_kernelINS0_14default_configENS1_29reduce_by_key_config_selectorIiiN6thrust23THRUST_200600_302600_NS4plusIiEEEEZZNS1_33reduce_by_key_impl_wrapped_configILNS1_25lookback_scan_determinismE0ES3_S9_NS6_18transform_iteratorI25linear_index_to_row_indexIiENS6_17counting_iteratorIiNS6_11use_defaultESG_SG_EESG_SG_EENS6_6detail15normal_iteratorINS6_10device_ptrIiEEEESN_SN_PmS8_NS6_8equal_toIiEEEE10hipError_tPvRmT2_T3_mT4_T5_T6_T7_T8_P12ihipStream_tbENKUlT_T0_E_clISt17integral_constantIbLb1EES17_IbLb0EEEEDaS13_S14_EUlS13_E_NS1_11comp_targetILNS1_3genE10ELNS1_11target_archE1201ELNS1_3gpuE5ELNS1_3repE0EEENS1_30default_config_static_selectorELNS0_4arch9wavefront6targetE0EEEvT1_.num_named_barrier, 0
	.set _ZN7rocprim17ROCPRIM_400000_NS6detail17trampoline_kernelINS0_14default_configENS1_29reduce_by_key_config_selectorIiiN6thrust23THRUST_200600_302600_NS4plusIiEEEEZZNS1_33reduce_by_key_impl_wrapped_configILNS1_25lookback_scan_determinismE0ES3_S9_NS6_18transform_iteratorI25linear_index_to_row_indexIiENS6_17counting_iteratorIiNS6_11use_defaultESG_SG_EESG_SG_EENS6_6detail15normal_iteratorINS6_10device_ptrIiEEEESN_SN_PmS8_NS6_8equal_toIiEEEE10hipError_tPvRmT2_T3_mT4_T5_T6_T7_T8_P12ihipStream_tbENKUlT_T0_E_clISt17integral_constantIbLb1EES17_IbLb0EEEEDaS13_S14_EUlS13_E_NS1_11comp_targetILNS1_3genE10ELNS1_11target_archE1201ELNS1_3gpuE5ELNS1_3repE0EEENS1_30default_config_static_selectorELNS0_4arch9wavefront6targetE0EEEvT1_.private_seg_size, 0
	.set _ZN7rocprim17ROCPRIM_400000_NS6detail17trampoline_kernelINS0_14default_configENS1_29reduce_by_key_config_selectorIiiN6thrust23THRUST_200600_302600_NS4plusIiEEEEZZNS1_33reduce_by_key_impl_wrapped_configILNS1_25lookback_scan_determinismE0ES3_S9_NS6_18transform_iteratorI25linear_index_to_row_indexIiENS6_17counting_iteratorIiNS6_11use_defaultESG_SG_EESG_SG_EENS6_6detail15normal_iteratorINS6_10device_ptrIiEEEESN_SN_PmS8_NS6_8equal_toIiEEEE10hipError_tPvRmT2_T3_mT4_T5_T6_T7_T8_P12ihipStream_tbENKUlT_T0_E_clISt17integral_constantIbLb1EES17_IbLb0EEEEDaS13_S14_EUlS13_E_NS1_11comp_targetILNS1_3genE10ELNS1_11target_archE1201ELNS1_3gpuE5ELNS1_3repE0EEENS1_30default_config_static_selectorELNS0_4arch9wavefront6targetE0EEEvT1_.uses_vcc, 0
	.set _ZN7rocprim17ROCPRIM_400000_NS6detail17trampoline_kernelINS0_14default_configENS1_29reduce_by_key_config_selectorIiiN6thrust23THRUST_200600_302600_NS4plusIiEEEEZZNS1_33reduce_by_key_impl_wrapped_configILNS1_25lookback_scan_determinismE0ES3_S9_NS6_18transform_iteratorI25linear_index_to_row_indexIiENS6_17counting_iteratorIiNS6_11use_defaultESG_SG_EESG_SG_EENS6_6detail15normal_iteratorINS6_10device_ptrIiEEEESN_SN_PmS8_NS6_8equal_toIiEEEE10hipError_tPvRmT2_T3_mT4_T5_T6_T7_T8_P12ihipStream_tbENKUlT_T0_E_clISt17integral_constantIbLb1EES17_IbLb0EEEEDaS13_S14_EUlS13_E_NS1_11comp_targetILNS1_3genE10ELNS1_11target_archE1201ELNS1_3gpuE5ELNS1_3repE0EEENS1_30default_config_static_selectorELNS0_4arch9wavefront6targetE0EEEvT1_.uses_flat_scratch, 0
	.set _ZN7rocprim17ROCPRIM_400000_NS6detail17trampoline_kernelINS0_14default_configENS1_29reduce_by_key_config_selectorIiiN6thrust23THRUST_200600_302600_NS4plusIiEEEEZZNS1_33reduce_by_key_impl_wrapped_configILNS1_25lookback_scan_determinismE0ES3_S9_NS6_18transform_iteratorI25linear_index_to_row_indexIiENS6_17counting_iteratorIiNS6_11use_defaultESG_SG_EESG_SG_EENS6_6detail15normal_iteratorINS6_10device_ptrIiEEEESN_SN_PmS8_NS6_8equal_toIiEEEE10hipError_tPvRmT2_T3_mT4_T5_T6_T7_T8_P12ihipStream_tbENKUlT_T0_E_clISt17integral_constantIbLb1EES17_IbLb0EEEEDaS13_S14_EUlS13_E_NS1_11comp_targetILNS1_3genE10ELNS1_11target_archE1201ELNS1_3gpuE5ELNS1_3repE0EEENS1_30default_config_static_selectorELNS0_4arch9wavefront6targetE0EEEvT1_.has_dyn_sized_stack, 0
	.set _ZN7rocprim17ROCPRIM_400000_NS6detail17trampoline_kernelINS0_14default_configENS1_29reduce_by_key_config_selectorIiiN6thrust23THRUST_200600_302600_NS4plusIiEEEEZZNS1_33reduce_by_key_impl_wrapped_configILNS1_25lookback_scan_determinismE0ES3_S9_NS6_18transform_iteratorI25linear_index_to_row_indexIiENS6_17counting_iteratorIiNS6_11use_defaultESG_SG_EESG_SG_EENS6_6detail15normal_iteratorINS6_10device_ptrIiEEEESN_SN_PmS8_NS6_8equal_toIiEEEE10hipError_tPvRmT2_T3_mT4_T5_T6_T7_T8_P12ihipStream_tbENKUlT_T0_E_clISt17integral_constantIbLb1EES17_IbLb0EEEEDaS13_S14_EUlS13_E_NS1_11comp_targetILNS1_3genE10ELNS1_11target_archE1201ELNS1_3gpuE5ELNS1_3repE0EEENS1_30default_config_static_selectorELNS0_4arch9wavefront6targetE0EEEvT1_.has_recursion, 0
	.set _ZN7rocprim17ROCPRIM_400000_NS6detail17trampoline_kernelINS0_14default_configENS1_29reduce_by_key_config_selectorIiiN6thrust23THRUST_200600_302600_NS4plusIiEEEEZZNS1_33reduce_by_key_impl_wrapped_configILNS1_25lookback_scan_determinismE0ES3_S9_NS6_18transform_iteratorI25linear_index_to_row_indexIiENS6_17counting_iteratorIiNS6_11use_defaultESG_SG_EESG_SG_EENS6_6detail15normal_iteratorINS6_10device_ptrIiEEEESN_SN_PmS8_NS6_8equal_toIiEEEE10hipError_tPvRmT2_T3_mT4_T5_T6_T7_T8_P12ihipStream_tbENKUlT_T0_E_clISt17integral_constantIbLb1EES17_IbLb0EEEEDaS13_S14_EUlS13_E_NS1_11comp_targetILNS1_3genE10ELNS1_11target_archE1201ELNS1_3gpuE5ELNS1_3repE0EEENS1_30default_config_static_selectorELNS0_4arch9wavefront6targetE0EEEvT1_.has_indirect_call, 0
	.section	.AMDGPU.csdata,"",@progbits
; Kernel info:
; codeLenInByte = 0
; TotalNumSgprs: 0
; NumVgprs: 0
; ScratchSize: 0
; MemoryBound: 0
; FloatMode: 240
; IeeeMode: 1
; LDSByteSize: 0 bytes/workgroup (compile time only)
; SGPRBlocks: 0
; VGPRBlocks: 0
; NumSGPRsForWavesPerEU: 1
; NumVGPRsForWavesPerEU: 1
; Occupancy: 16
; WaveLimiterHint : 0
; COMPUTE_PGM_RSRC2:SCRATCH_EN: 0
; COMPUTE_PGM_RSRC2:USER_SGPR: 6
; COMPUTE_PGM_RSRC2:TRAP_HANDLER: 0
; COMPUTE_PGM_RSRC2:TGID_X_EN: 1
; COMPUTE_PGM_RSRC2:TGID_Y_EN: 0
; COMPUTE_PGM_RSRC2:TGID_Z_EN: 0
; COMPUTE_PGM_RSRC2:TIDIG_COMP_CNT: 0
	.section	.text._ZN7rocprim17ROCPRIM_400000_NS6detail17trampoline_kernelINS0_14default_configENS1_29reduce_by_key_config_selectorIiiN6thrust23THRUST_200600_302600_NS4plusIiEEEEZZNS1_33reduce_by_key_impl_wrapped_configILNS1_25lookback_scan_determinismE0ES3_S9_NS6_18transform_iteratorI25linear_index_to_row_indexIiENS6_17counting_iteratorIiNS6_11use_defaultESG_SG_EESG_SG_EENS6_6detail15normal_iteratorINS6_10device_ptrIiEEEESN_SN_PmS8_NS6_8equal_toIiEEEE10hipError_tPvRmT2_T3_mT4_T5_T6_T7_T8_P12ihipStream_tbENKUlT_T0_E_clISt17integral_constantIbLb1EES17_IbLb0EEEEDaS13_S14_EUlS13_E_NS1_11comp_targetILNS1_3genE10ELNS1_11target_archE1200ELNS1_3gpuE4ELNS1_3repE0EEENS1_30default_config_static_selectorELNS0_4arch9wavefront6targetE0EEEvT1_,"axG",@progbits,_ZN7rocprim17ROCPRIM_400000_NS6detail17trampoline_kernelINS0_14default_configENS1_29reduce_by_key_config_selectorIiiN6thrust23THRUST_200600_302600_NS4plusIiEEEEZZNS1_33reduce_by_key_impl_wrapped_configILNS1_25lookback_scan_determinismE0ES3_S9_NS6_18transform_iteratorI25linear_index_to_row_indexIiENS6_17counting_iteratorIiNS6_11use_defaultESG_SG_EESG_SG_EENS6_6detail15normal_iteratorINS6_10device_ptrIiEEEESN_SN_PmS8_NS6_8equal_toIiEEEE10hipError_tPvRmT2_T3_mT4_T5_T6_T7_T8_P12ihipStream_tbENKUlT_T0_E_clISt17integral_constantIbLb1EES17_IbLb0EEEEDaS13_S14_EUlS13_E_NS1_11comp_targetILNS1_3genE10ELNS1_11target_archE1200ELNS1_3gpuE4ELNS1_3repE0EEENS1_30default_config_static_selectorELNS0_4arch9wavefront6targetE0EEEvT1_,comdat
	.protected	_ZN7rocprim17ROCPRIM_400000_NS6detail17trampoline_kernelINS0_14default_configENS1_29reduce_by_key_config_selectorIiiN6thrust23THRUST_200600_302600_NS4plusIiEEEEZZNS1_33reduce_by_key_impl_wrapped_configILNS1_25lookback_scan_determinismE0ES3_S9_NS6_18transform_iteratorI25linear_index_to_row_indexIiENS6_17counting_iteratorIiNS6_11use_defaultESG_SG_EESG_SG_EENS6_6detail15normal_iteratorINS6_10device_ptrIiEEEESN_SN_PmS8_NS6_8equal_toIiEEEE10hipError_tPvRmT2_T3_mT4_T5_T6_T7_T8_P12ihipStream_tbENKUlT_T0_E_clISt17integral_constantIbLb1EES17_IbLb0EEEEDaS13_S14_EUlS13_E_NS1_11comp_targetILNS1_3genE10ELNS1_11target_archE1200ELNS1_3gpuE4ELNS1_3repE0EEENS1_30default_config_static_selectorELNS0_4arch9wavefront6targetE0EEEvT1_ ; -- Begin function _ZN7rocprim17ROCPRIM_400000_NS6detail17trampoline_kernelINS0_14default_configENS1_29reduce_by_key_config_selectorIiiN6thrust23THRUST_200600_302600_NS4plusIiEEEEZZNS1_33reduce_by_key_impl_wrapped_configILNS1_25lookback_scan_determinismE0ES3_S9_NS6_18transform_iteratorI25linear_index_to_row_indexIiENS6_17counting_iteratorIiNS6_11use_defaultESG_SG_EESG_SG_EENS6_6detail15normal_iteratorINS6_10device_ptrIiEEEESN_SN_PmS8_NS6_8equal_toIiEEEE10hipError_tPvRmT2_T3_mT4_T5_T6_T7_T8_P12ihipStream_tbENKUlT_T0_E_clISt17integral_constantIbLb1EES17_IbLb0EEEEDaS13_S14_EUlS13_E_NS1_11comp_targetILNS1_3genE10ELNS1_11target_archE1200ELNS1_3gpuE4ELNS1_3repE0EEENS1_30default_config_static_selectorELNS0_4arch9wavefront6targetE0EEEvT1_
	.globl	_ZN7rocprim17ROCPRIM_400000_NS6detail17trampoline_kernelINS0_14default_configENS1_29reduce_by_key_config_selectorIiiN6thrust23THRUST_200600_302600_NS4plusIiEEEEZZNS1_33reduce_by_key_impl_wrapped_configILNS1_25lookback_scan_determinismE0ES3_S9_NS6_18transform_iteratorI25linear_index_to_row_indexIiENS6_17counting_iteratorIiNS6_11use_defaultESG_SG_EESG_SG_EENS6_6detail15normal_iteratorINS6_10device_ptrIiEEEESN_SN_PmS8_NS6_8equal_toIiEEEE10hipError_tPvRmT2_T3_mT4_T5_T6_T7_T8_P12ihipStream_tbENKUlT_T0_E_clISt17integral_constantIbLb1EES17_IbLb0EEEEDaS13_S14_EUlS13_E_NS1_11comp_targetILNS1_3genE10ELNS1_11target_archE1200ELNS1_3gpuE4ELNS1_3repE0EEENS1_30default_config_static_selectorELNS0_4arch9wavefront6targetE0EEEvT1_
	.p2align	8
	.type	_ZN7rocprim17ROCPRIM_400000_NS6detail17trampoline_kernelINS0_14default_configENS1_29reduce_by_key_config_selectorIiiN6thrust23THRUST_200600_302600_NS4plusIiEEEEZZNS1_33reduce_by_key_impl_wrapped_configILNS1_25lookback_scan_determinismE0ES3_S9_NS6_18transform_iteratorI25linear_index_to_row_indexIiENS6_17counting_iteratorIiNS6_11use_defaultESG_SG_EESG_SG_EENS6_6detail15normal_iteratorINS6_10device_ptrIiEEEESN_SN_PmS8_NS6_8equal_toIiEEEE10hipError_tPvRmT2_T3_mT4_T5_T6_T7_T8_P12ihipStream_tbENKUlT_T0_E_clISt17integral_constantIbLb1EES17_IbLb0EEEEDaS13_S14_EUlS13_E_NS1_11comp_targetILNS1_3genE10ELNS1_11target_archE1200ELNS1_3gpuE4ELNS1_3repE0EEENS1_30default_config_static_selectorELNS0_4arch9wavefront6targetE0EEEvT1_,@function
_ZN7rocprim17ROCPRIM_400000_NS6detail17trampoline_kernelINS0_14default_configENS1_29reduce_by_key_config_selectorIiiN6thrust23THRUST_200600_302600_NS4plusIiEEEEZZNS1_33reduce_by_key_impl_wrapped_configILNS1_25lookback_scan_determinismE0ES3_S9_NS6_18transform_iteratorI25linear_index_to_row_indexIiENS6_17counting_iteratorIiNS6_11use_defaultESG_SG_EESG_SG_EENS6_6detail15normal_iteratorINS6_10device_ptrIiEEEESN_SN_PmS8_NS6_8equal_toIiEEEE10hipError_tPvRmT2_T3_mT4_T5_T6_T7_T8_P12ihipStream_tbENKUlT_T0_E_clISt17integral_constantIbLb1EES17_IbLb0EEEEDaS13_S14_EUlS13_E_NS1_11comp_targetILNS1_3genE10ELNS1_11target_archE1200ELNS1_3gpuE4ELNS1_3repE0EEENS1_30default_config_static_selectorELNS0_4arch9wavefront6targetE0EEEvT1_: ; @_ZN7rocprim17ROCPRIM_400000_NS6detail17trampoline_kernelINS0_14default_configENS1_29reduce_by_key_config_selectorIiiN6thrust23THRUST_200600_302600_NS4plusIiEEEEZZNS1_33reduce_by_key_impl_wrapped_configILNS1_25lookback_scan_determinismE0ES3_S9_NS6_18transform_iteratorI25linear_index_to_row_indexIiENS6_17counting_iteratorIiNS6_11use_defaultESG_SG_EESG_SG_EENS6_6detail15normal_iteratorINS6_10device_ptrIiEEEESN_SN_PmS8_NS6_8equal_toIiEEEE10hipError_tPvRmT2_T3_mT4_T5_T6_T7_T8_P12ihipStream_tbENKUlT_T0_E_clISt17integral_constantIbLb1EES17_IbLb0EEEEDaS13_S14_EUlS13_E_NS1_11comp_targetILNS1_3genE10ELNS1_11target_archE1200ELNS1_3gpuE4ELNS1_3repE0EEENS1_30default_config_static_selectorELNS0_4arch9wavefront6targetE0EEEvT1_
; %bb.0:
	.section	.rodata,"a",@progbits
	.p2align	6, 0x0
	.amdhsa_kernel _ZN7rocprim17ROCPRIM_400000_NS6detail17trampoline_kernelINS0_14default_configENS1_29reduce_by_key_config_selectorIiiN6thrust23THRUST_200600_302600_NS4plusIiEEEEZZNS1_33reduce_by_key_impl_wrapped_configILNS1_25lookback_scan_determinismE0ES3_S9_NS6_18transform_iteratorI25linear_index_to_row_indexIiENS6_17counting_iteratorIiNS6_11use_defaultESG_SG_EESG_SG_EENS6_6detail15normal_iteratorINS6_10device_ptrIiEEEESN_SN_PmS8_NS6_8equal_toIiEEEE10hipError_tPvRmT2_T3_mT4_T5_T6_T7_T8_P12ihipStream_tbENKUlT_T0_E_clISt17integral_constantIbLb1EES17_IbLb0EEEEDaS13_S14_EUlS13_E_NS1_11comp_targetILNS1_3genE10ELNS1_11target_archE1200ELNS1_3gpuE4ELNS1_3repE0EEENS1_30default_config_static_selectorELNS0_4arch9wavefront6targetE0EEEvT1_
		.amdhsa_group_segment_fixed_size 0
		.amdhsa_private_segment_fixed_size 0
		.amdhsa_kernarg_size 120
		.amdhsa_user_sgpr_count 6
		.amdhsa_user_sgpr_private_segment_buffer 1
		.amdhsa_user_sgpr_dispatch_ptr 0
		.amdhsa_user_sgpr_queue_ptr 0
		.amdhsa_user_sgpr_kernarg_segment_ptr 1
		.amdhsa_user_sgpr_dispatch_id 0
		.amdhsa_user_sgpr_flat_scratch_init 0
		.amdhsa_user_sgpr_private_segment_size 0
		.amdhsa_wavefront_size32 1
		.amdhsa_uses_dynamic_stack 0
		.amdhsa_system_sgpr_private_segment_wavefront_offset 0
		.amdhsa_system_sgpr_workgroup_id_x 1
		.amdhsa_system_sgpr_workgroup_id_y 0
		.amdhsa_system_sgpr_workgroup_id_z 0
		.amdhsa_system_sgpr_workgroup_info 0
		.amdhsa_system_vgpr_workitem_id 0
		.amdhsa_next_free_vgpr 1
		.amdhsa_next_free_sgpr 1
		.amdhsa_reserve_vcc 0
		.amdhsa_reserve_flat_scratch 0
		.amdhsa_float_round_mode_32 0
		.amdhsa_float_round_mode_16_64 0
		.amdhsa_float_denorm_mode_32 3
		.amdhsa_float_denorm_mode_16_64 3
		.amdhsa_dx10_clamp 1
		.amdhsa_ieee_mode 1
		.amdhsa_fp16_overflow 0
		.amdhsa_workgroup_processor_mode 1
		.amdhsa_memory_ordered 1
		.amdhsa_forward_progress 1
		.amdhsa_shared_vgpr_count 0
		.amdhsa_exception_fp_ieee_invalid_op 0
		.amdhsa_exception_fp_denorm_src 0
		.amdhsa_exception_fp_ieee_div_zero 0
		.amdhsa_exception_fp_ieee_overflow 0
		.amdhsa_exception_fp_ieee_underflow 0
		.amdhsa_exception_fp_ieee_inexact 0
		.amdhsa_exception_int_div_zero 0
	.end_amdhsa_kernel
	.section	.text._ZN7rocprim17ROCPRIM_400000_NS6detail17trampoline_kernelINS0_14default_configENS1_29reduce_by_key_config_selectorIiiN6thrust23THRUST_200600_302600_NS4plusIiEEEEZZNS1_33reduce_by_key_impl_wrapped_configILNS1_25lookback_scan_determinismE0ES3_S9_NS6_18transform_iteratorI25linear_index_to_row_indexIiENS6_17counting_iteratorIiNS6_11use_defaultESG_SG_EESG_SG_EENS6_6detail15normal_iteratorINS6_10device_ptrIiEEEESN_SN_PmS8_NS6_8equal_toIiEEEE10hipError_tPvRmT2_T3_mT4_T5_T6_T7_T8_P12ihipStream_tbENKUlT_T0_E_clISt17integral_constantIbLb1EES17_IbLb0EEEEDaS13_S14_EUlS13_E_NS1_11comp_targetILNS1_3genE10ELNS1_11target_archE1200ELNS1_3gpuE4ELNS1_3repE0EEENS1_30default_config_static_selectorELNS0_4arch9wavefront6targetE0EEEvT1_,"axG",@progbits,_ZN7rocprim17ROCPRIM_400000_NS6detail17trampoline_kernelINS0_14default_configENS1_29reduce_by_key_config_selectorIiiN6thrust23THRUST_200600_302600_NS4plusIiEEEEZZNS1_33reduce_by_key_impl_wrapped_configILNS1_25lookback_scan_determinismE0ES3_S9_NS6_18transform_iteratorI25linear_index_to_row_indexIiENS6_17counting_iteratorIiNS6_11use_defaultESG_SG_EESG_SG_EENS6_6detail15normal_iteratorINS6_10device_ptrIiEEEESN_SN_PmS8_NS6_8equal_toIiEEEE10hipError_tPvRmT2_T3_mT4_T5_T6_T7_T8_P12ihipStream_tbENKUlT_T0_E_clISt17integral_constantIbLb1EES17_IbLb0EEEEDaS13_S14_EUlS13_E_NS1_11comp_targetILNS1_3genE10ELNS1_11target_archE1200ELNS1_3gpuE4ELNS1_3repE0EEENS1_30default_config_static_selectorELNS0_4arch9wavefront6targetE0EEEvT1_,comdat
.Lfunc_end37:
	.size	_ZN7rocprim17ROCPRIM_400000_NS6detail17trampoline_kernelINS0_14default_configENS1_29reduce_by_key_config_selectorIiiN6thrust23THRUST_200600_302600_NS4plusIiEEEEZZNS1_33reduce_by_key_impl_wrapped_configILNS1_25lookback_scan_determinismE0ES3_S9_NS6_18transform_iteratorI25linear_index_to_row_indexIiENS6_17counting_iteratorIiNS6_11use_defaultESG_SG_EESG_SG_EENS6_6detail15normal_iteratorINS6_10device_ptrIiEEEESN_SN_PmS8_NS6_8equal_toIiEEEE10hipError_tPvRmT2_T3_mT4_T5_T6_T7_T8_P12ihipStream_tbENKUlT_T0_E_clISt17integral_constantIbLb1EES17_IbLb0EEEEDaS13_S14_EUlS13_E_NS1_11comp_targetILNS1_3genE10ELNS1_11target_archE1200ELNS1_3gpuE4ELNS1_3repE0EEENS1_30default_config_static_selectorELNS0_4arch9wavefront6targetE0EEEvT1_, .Lfunc_end37-_ZN7rocprim17ROCPRIM_400000_NS6detail17trampoline_kernelINS0_14default_configENS1_29reduce_by_key_config_selectorIiiN6thrust23THRUST_200600_302600_NS4plusIiEEEEZZNS1_33reduce_by_key_impl_wrapped_configILNS1_25lookback_scan_determinismE0ES3_S9_NS6_18transform_iteratorI25linear_index_to_row_indexIiENS6_17counting_iteratorIiNS6_11use_defaultESG_SG_EESG_SG_EENS6_6detail15normal_iteratorINS6_10device_ptrIiEEEESN_SN_PmS8_NS6_8equal_toIiEEEE10hipError_tPvRmT2_T3_mT4_T5_T6_T7_T8_P12ihipStream_tbENKUlT_T0_E_clISt17integral_constantIbLb1EES17_IbLb0EEEEDaS13_S14_EUlS13_E_NS1_11comp_targetILNS1_3genE10ELNS1_11target_archE1200ELNS1_3gpuE4ELNS1_3repE0EEENS1_30default_config_static_selectorELNS0_4arch9wavefront6targetE0EEEvT1_
                                        ; -- End function
	.set _ZN7rocprim17ROCPRIM_400000_NS6detail17trampoline_kernelINS0_14default_configENS1_29reduce_by_key_config_selectorIiiN6thrust23THRUST_200600_302600_NS4plusIiEEEEZZNS1_33reduce_by_key_impl_wrapped_configILNS1_25lookback_scan_determinismE0ES3_S9_NS6_18transform_iteratorI25linear_index_to_row_indexIiENS6_17counting_iteratorIiNS6_11use_defaultESG_SG_EESG_SG_EENS6_6detail15normal_iteratorINS6_10device_ptrIiEEEESN_SN_PmS8_NS6_8equal_toIiEEEE10hipError_tPvRmT2_T3_mT4_T5_T6_T7_T8_P12ihipStream_tbENKUlT_T0_E_clISt17integral_constantIbLb1EES17_IbLb0EEEEDaS13_S14_EUlS13_E_NS1_11comp_targetILNS1_3genE10ELNS1_11target_archE1200ELNS1_3gpuE4ELNS1_3repE0EEENS1_30default_config_static_selectorELNS0_4arch9wavefront6targetE0EEEvT1_.num_vgpr, 0
	.set _ZN7rocprim17ROCPRIM_400000_NS6detail17trampoline_kernelINS0_14default_configENS1_29reduce_by_key_config_selectorIiiN6thrust23THRUST_200600_302600_NS4plusIiEEEEZZNS1_33reduce_by_key_impl_wrapped_configILNS1_25lookback_scan_determinismE0ES3_S9_NS6_18transform_iteratorI25linear_index_to_row_indexIiENS6_17counting_iteratorIiNS6_11use_defaultESG_SG_EESG_SG_EENS6_6detail15normal_iteratorINS6_10device_ptrIiEEEESN_SN_PmS8_NS6_8equal_toIiEEEE10hipError_tPvRmT2_T3_mT4_T5_T6_T7_T8_P12ihipStream_tbENKUlT_T0_E_clISt17integral_constantIbLb1EES17_IbLb0EEEEDaS13_S14_EUlS13_E_NS1_11comp_targetILNS1_3genE10ELNS1_11target_archE1200ELNS1_3gpuE4ELNS1_3repE0EEENS1_30default_config_static_selectorELNS0_4arch9wavefront6targetE0EEEvT1_.num_agpr, 0
	.set _ZN7rocprim17ROCPRIM_400000_NS6detail17trampoline_kernelINS0_14default_configENS1_29reduce_by_key_config_selectorIiiN6thrust23THRUST_200600_302600_NS4plusIiEEEEZZNS1_33reduce_by_key_impl_wrapped_configILNS1_25lookback_scan_determinismE0ES3_S9_NS6_18transform_iteratorI25linear_index_to_row_indexIiENS6_17counting_iteratorIiNS6_11use_defaultESG_SG_EESG_SG_EENS6_6detail15normal_iteratorINS6_10device_ptrIiEEEESN_SN_PmS8_NS6_8equal_toIiEEEE10hipError_tPvRmT2_T3_mT4_T5_T6_T7_T8_P12ihipStream_tbENKUlT_T0_E_clISt17integral_constantIbLb1EES17_IbLb0EEEEDaS13_S14_EUlS13_E_NS1_11comp_targetILNS1_3genE10ELNS1_11target_archE1200ELNS1_3gpuE4ELNS1_3repE0EEENS1_30default_config_static_selectorELNS0_4arch9wavefront6targetE0EEEvT1_.numbered_sgpr, 0
	.set _ZN7rocprim17ROCPRIM_400000_NS6detail17trampoline_kernelINS0_14default_configENS1_29reduce_by_key_config_selectorIiiN6thrust23THRUST_200600_302600_NS4plusIiEEEEZZNS1_33reduce_by_key_impl_wrapped_configILNS1_25lookback_scan_determinismE0ES3_S9_NS6_18transform_iteratorI25linear_index_to_row_indexIiENS6_17counting_iteratorIiNS6_11use_defaultESG_SG_EESG_SG_EENS6_6detail15normal_iteratorINS6_10device_ptrIiEEEESN_SN_PmS8_NS6_8equal_toIiEEEE10hipError_tPvRmT2_T3_mT4_T5_T6_T7_T8_P12ihipStream_tbENKUlT_T0_E_clISt17integral_constantIbLb1EES17_IbLb0EEEEDaS13_S14_EUlS13_E_NS1_11comp_targetILNS1_3genE10ELNS1_11target_archE1200ELNS1_3gpuE4ELNS1_3repE0EEENS1_30default_config_static_selectorELNS0_4arch9wavefront6targetE0EEEvT1_.num_named_barrier, 0
	.set _ZN7rocprim17ROCPRIM_400000_NS6detail17trampoline_kernelINS0_14default_configENS1_29reduce_by_key_config_selectorIiiN6thrust23THRUST_200600_302600_NS4plusIiEEEEZZNS1_33reduce_by_key_impl_wrapped_configILNS1_25lookback_scan_determinismE0ES3_S9_NS6_18transform_iteratorI25linear_index_to_row_indexIiENS6_17counting_iteratorIiNS6_11use_defaultESG_SG_EESG_SG_EENS6_6detail15normal_iteratorINS6_10device_ptrIiEEEESN_SN_PmS8_NS6_8equal_toIiEEEE10hipError_tPvRmT2_T3_mT4_T5_T6_T7_T8_P12ihipStream_tbENKUlT_T0_E_clISt17integral_constantIbLb1EES17_IbLb0EEEEDaS13_S14_EUlS13_E_NS1_11comp_targetILNS1_3genE10ELNS1_11target_archE1200ELNS1_3gpuE4ELNS1_3repE0EEENS1_30default_config_static_selectorELNS0_4arch9wavefront6targetE0EEEvT1_.private_seg_size, 0
	.set _ZN7rocprim17ROCPRIM_400000_NS6detail17trampoline_kernelINS0_14default_configENS1_29reduce_by_key_config_selectorIiiN6thrust23THRUST_200600_302600_NS4plusIiEEEEZZNS1_33reduce_by_key_impl_wrapped_configILNS1_25lookback_scan_determinismE0ES3_S9_NS6_18transform_iteratorI25linear_index_to_row_indexIiENS6_17counting_iteratorIiNS6_11use_defaultESG_SG_EESG_SG_EENS6_6detail15normal_iteratorINS6_10device_ptrIiEEEESN_SN_PmS8_NS6_8equal_toIiEEEE10hipError_tPvRmT2_T3_mT4_T5_T6_T7_T8_P12ihipStream_tbENKUlT_T0_E_clISt17integral_constantIbLb1EES17_IbLb0EEEEDaS13_S14_EUlS13_E_NS1_11comp_targetILNS1_3genE10ELNS1_11target_archE1200ELNS1_3gpuE4ELNS1_3repE0EEENS1_30default_config_static_selectorELNS0_4arch9wavefront6targetE0EEEvT1_.uses_vcc, 0
	.set _ZN7rocprim17ROCPRIM_400000_NS6detail17trampoline_kernelINS0_14default_configENS1_29reduce_by_key_config_selectorIiiN6thrust23THRUST_200600_302600_NS4plusIiEEEEZZNS1_33reduce_by_key_impl_wrapped_configILNS1_25lookback_scan_determinismE0ES3_S9_NS6_18transform_iteratorI25linear_index_to_row_indexIiENS6_17counting_iteratorIiNS6_11use_defaultESG_SG_EESG_SG_EENS6_6detail15normal_iteratorINS6_10device_ptrIiEEEESN_SN_PmS8_NS6_8equal_toIiEEEE10hipError_tPvRmT2_T3_mT4_T5_T6_T7_T8_P12ihipStream_tbENKUlT_T0_E_clISt17integral_constantIbLb1EES17_IbLb0EEEEDaS13_S14_EUlS13_E_NS1_11comp_targetILNS1_3genE10ELNS1_11target_archE1200ELNS1_3gpuE4ELNS1_3repE0EEENS1_30default_config_static_selectorELNS0_4arch9wavefront6targetE0EEEvT1_.uses_flat_scratch, 0
	.set _ZN7rocprim17ROCPRIM_400000_NS6detail17trampoline_kernelINS0_14default_configENS1_29reduce_by_key_config_selectorIiiN6thrust23THRUST_200600_302600_NS4plusIiEEEEZZNS1_33reduce_by_key_impl_wrapped_configILNS1_25lookback_scan_determinismE0ES3_S9_NS6_18transform_iteratorI25linear_index_to_row_indexIiENS6_17counting_iteratorIiNS6_11use_defaultESG_SG_EESG_SG_EENS6_6detail15normal_iteratorINS6_10device_ptrIiEEEESN_SN_PmS8_NS6_8equal_toIiEEEE10hipError_tPvRmT2_T3_mT4_T5_T6_T7_T8_P12ihipStream_tbENKUlT_T0_E_clISt17integral_constantIbLb1EES17_IbLb0EEEEDaS13_S14_EUlS13_E_NS1_11comp_targetILNS1_3genE10ELNS1_11target_archE1200ELNS1_3gpuE4ELNS1_3repE0EEENS1_30default_config_static_selectorELNS0_4arch9wavefront6targetE0EEEvT1_.has_dyn_sized_stack, 0
	.set _ZN7rocprim17ROCPRIM_400000_NS6detail17trampoline_kernelINS0_14default_configENS1_29reduce_by_key_config_selectorIiiN6thrust23THRUST_200600_302600_NS4plusIiEEEEZZNS1_33reduce_by_key_impl_wrapped_configILNS1_25lookback_scan_determinismE0ES3_S9_NS6_18transform_iteratorI25linear_index_to_row_indexIiENS6_17counting_iteratorIiNS6_11use_defaultESG_SG_EESG_SG_EENS6_6detail15normal_iteratorINS6_10device_ptrIiEEEESN_SN_PmS8_NS6_8equal_toIiEEEE10hipError_tPvRmT2_T3_mT4_T5_T6_T7_T8_P12ihipStream_tbENKUlT_T0_E_clISt17integral_constantIbLb1EES17_IbLb0EEEEDaS13_S14_EUlS13_E_NS1_11comp_targetILNS1_3genE10ELNS1_11target_archE1200ELNS1_3gpuE4ELNS1_3repE0EEENS1_30default_config_static_selectorELNS0_4arch9wavefront6targetE0EEEvT1_.has_recursion, 0
	.set _ZN7rocprim17ROCPRIM_400000_NS6detail17trampoline_kernelINS0_14default_configENS1_29reduce_by_key_config_selectorIiiN6thrust23THRUST_200600_302600_NS4plusIiEEEEZZNS1_33reduce_by_key_impl_wrapped_configILNS1_25lookback_scan_determinismE0ES3_S9_NS6_18transform_iteratorI25linear_index_to_row_indexIiENS6_17counting_iteratorIiNS6_11use_defaultESG_SG_EESG_SG_EENS6_6detail15normal_iteratorINS6_10device_ptrIiEEEESN_SN_PmS8_NS6_8equal_toIiEEEE10hipError_tPvRmT2_T3_mT4_T5_T6_T7_T8_P12ihipStream_tbENKUlT_T0_E_clISt17integral_constantIbLb1EES17_IbLb0EEEEDaS13_S14_EUlS13_E_NS1_11comp_targetILNS1_3genE10ELNS1_11target_archE1200ELNS1_3gpuE4ELNS1_3repE0EEENS1_30default_config_static_selectorELNS0_4arch9wavefront6targetE0EEEvT1_.has_indirect_call, 0
	.section	.AMDGPU.csdata,"",@progbits
; Kernel info:
; codeLenInByte = 0
; TotalNumSgprs: 0
; NumVgprs: 0
; ScratchSize: 0
; MemoryBound: 0
; FloatMode: 240
; IeeeMode: 1
; LDSByteSize: 0 bytes/workgroup (compile time only)
; SGPRBlocks: 0
; VGPRBlocks: 0
; NumSGPRsForWavesPerEU: 1
; NumVGPRsForWavesPerEU: 1
; Occupancy: 16
; WaveLimiterHint : 0
; COMPUTE_PGM_RSRC2:SCRATCH_EN: 0
; COMPUTE_PGM_RSRC2:USER_SGPR: 6
; COMPUTE_PGM_RSRC2:TRAP_HANDLER: 0
; COMPUTE_PGM_RSRC2:TGID_X_EN: 1
; COMPUTE_PGM_RSRC2:TGID_Y_EN: 0
; COMPUTE_PGM_RSRC2:TGID_Z_EN: 0
; COMPUTE_PGM_RSRC2:TIDIG_COMP_CNT: 0
	.section	.text._ZN7rocprim17ROCPRIM_400000_NS6detail17trampoline_kernelINS0_14default_configENS1_29reduce_by_key_config_selectorIiiN6thrust23THRUST_200600_302600_NS4plusIiEEEEZZNS1_33reduce_by_key_impl_wrapped_configILNS1_25lookback_scan_determinismE0ES3_S9_NS6_18transform_iteratorI25linear_index_to_row_indexIiENS6_17counting_iteratorIiNS6_11use_defaultESG_SG_EESG_SG_EENS6_6detail15normal_iteratorINS6_10device_ptrIiEEEESN_SN_PmS8_NS6_8equal_toIiEEEE10hipError_tPvRmT2_T3_mT4_T5_T6_T7_T8_P12ihipStream_tbENKUlT_T0_E_clISt17integral_constantIbLb1EES17_IbLb0EEEEDaS13_S14_EUlS13_E_NS1_11comp_targetILNS1_3genE9ELNS1_11target_archE1100ELNS1_3gpuE3ELNS1_3repE0EEENS1_30default_config_static_selectorELNS0_4arch9wavefront6targetE0EEEvT1_,"axG",@progbits,_ZN7rocprim17ROCPRIM_400000_NS6detail17trampoline_kernelINS0_14default_configENS1_29reduce_by_key_config_selectorIiiN6thrust23THRUST_200600_302600_NS4plusIiEEEEZZNS1_33reduce_by_key_impl_wrapped_configILNS1_25lookback_scan_determinismE0ES3_S9_NS6_18transform_iteratorI25linear_index_to_row_indexIiENS6_17counting_iteratorIiNS6_11use_defaultESG_SG_EESG_SG_EENS6_6detail15normal_iteratorINS6_10device_ptrIiEEEESN_SN_PmS8_NS6_8equal_toIiEEEE10hipError_tPvRmT2_T3_mT4_T5_T6_T7_T8_P12ihipStream_tbENKUlT_T0_E_clISt17integral_constantIbLb1EES17_IbLb0EEEEDaS13_S14_EUlS13_E_NS1_11comp_targetILNS1_3genE9ELNS1_11target_archE1100ELNS1_3gpuE3ELNS1_3repE0EEENS1_30default_config_static_selectorELNS0_4arch9wavefront6targetE0EEEvT1_,comdat
	.protected	_ZN7rocprim17ROCPRIM_400000_NS6detail17trampoline_kernelINS0_14default_configENS1_29reduce_by_key_config_selectorIiiN6thrust23THRUST_200600_302600_NS4plusIiEEEEZZNS1_33reduce_by_key_impl_wrapped_configILNS1_25lookback_scan_determinismE0ES3_S9_NS6_18transform_iteratorI25linear_index_to_row_indexIiENS6_17counting_iteratorIiNS6_11use_defaultESG_SG_EESG_SG_EENS6_6detail15normal_iteratorINS6_10device_ptrIiEEEESN_SN_PmS8_NS6_8equal_toIiEEEE10hipError_tPvRmT2_T3_mT4_T5_T6_T7_T8_P12ihipStream_tbENKUlT_T0_E_clISt17integral_constantIbLb1EES17_IbLb0EEEEDaS13_S14_EUlS13_E_NS1_11comp_targetILNS1_3genE9ELNS1_11target_archE1100ELNS1_3gpuE3ELNS1_3repE0EEENS1_30default_config_static_selectorELNS0_4arch9wavefront6targetE0EEEvT1_ ; -- Begin function _ZN7rocprim17ROCPRIM_400000_NS6detail17trampoline_kernelINS0_14default_configENS1_29reduce_by_key_config_selectorIiiN6thrust23THRUST_200600_302600_NS4plusIiEEEEZZNS1_33reduce_by_key_impl_wrapped_configILNS1_25lookback_scan_determinismE0ES3_S9_NS6_18transform_iteratorI25linear_index_to_row_indexIiENS6_17counting_iteratorIiNS6_11use_defaultESG_SG_EESG_SG_EENS6_6detail15normal_iteratorINS6_10device_ptrIiEEEESN_SN_PmS8_NS6_8equal_toIiEEEE10hipError_tPvRmT2_T3_mT4_T5_T6_T7_T8_P12ihipStream_tbENKUlT_T0_E_clISt17integral_constantIbLb1EES17_IbLb0EEEEDaS13_S14_EUlS13_E_NS1_11comp_targetILNS1_3genE9ELNS1_11target_archE1100ELNS1_3gpuE3ELNS1_3repE0EEENS1_30default_config_static_selectorELNS0_4arch9wavefront6targetE0EEEvT1_
	.globl	_ZN7rocprim17ROCPRIM_400000_NS6detail17trampoline_kernelINS0_14default_configENS1_29reduce_by_key_config_selectorIiiN6thrust23THRUST_200600_302600_NS4plusIiEEEEZZNS1_33reduce_by_key_impl_wrapped_configILNS1_25lookback_scan_determinismE0ES3_S9_NS6_18transform_iteratorI25linear_index_to_row_indexIiENS6_17counting_iteratorIiNS6_11use_defaultESG_SG_EESG_SG_EENS6_6detail15normal_iteratorINS6_10device_ptrIiEEEESN_SN_PmS8_NS6_8equal_toIiEEEE10hipError_tPvRmT2_T3_mT4_T5_T6_T7_T8_P12ihipStream_tbENKUlT_T0_E_clISt17integral_constantIbLb1EES17_IbLb0EEEEDaS13_S14_EUlS13_E_NS1_11comp_targetILNS1_3genE9ELNS1_11target_archE1100ELNS1_3gpuE3ELNS1_3repE0EEENS1_30default_config_static_selectorELNS0_4arch9wavefront6targetE0EEEvT1_
	.p2align	8
	.type	_ZN7rocprim17ROCPRIM_400000_NS6detail17trampoline_kernelINS0_14default_configENS1_29reduce_by_key_config_selectorIiiN6thrust23THRUST_200600_302600_NS4plusIiEEEEZZNS1_33reduce_by_key_impl_wrapped_configILNS1_25lookback_scan_determinismE0ES3_S9_NS6_18transform_iteratorI25linear_index_to_row_indexIiENS6_17counting_iteratorIiNS6_11use_defaultESG_SG_EESG_SG_EENS6_6detail15normal_iteratorINS6_10device_ptrIiEEEESN_SN_PmS8_NS6_8equal_toIiEEEE10hipError_tPvRmT2_T3_mT4_T5_T6_T7_T8_P12ihipStream_tbENKUlT_T0_E_clISt17integral_constantIbLb1EES17_IbLb0EEEEDaS13_S14_EUlS13_E_NS1_11comp_targetILNS1_3genE9ELNS1_11target_archE1100ELNS1_3gpuE3ELNS1_3repE0EEENS1_30default_config_static_selectorELNS0_4arch9wavefront6targetE0EEEvT1_,@function
_ZN7rocprim17ROCPRIM_400000_NS6detail17trampoline_kernelINS0_14default_configENS1_29reduce_by_key_config_selectorIiiN6thrust23THRUST_200600_302600_NS4plusIiEEEEZZNS1_33reduce_by_key_impl_wrapped_configILNS1_25lookback_scan_determinismE0ES3_S9_NS6_18transform_iteratorI25linear_index_to_row_indexIiENS6_17counting_iteratorIiNS6_11use_defaultESG_SG_EESG_SG_EENS6_6detail15normal_iteratorINS6_10device_ptrIiEEEESN_SN_PmS8_NS6_8equal_toIiEEEE10hipError_tPvRmT2_T3_mT4_T5_T6_T7_T8_P12ihipStream_tbENKUlT_T0_E_clISt17integral_constantIbLb1EES17_IbLb0EEEEDaS13_S14_EUlS13_E_NS1_11comp_targetILNS1_3genE9ELNS1_11target_archE1100ELNS1_3gpuE3ELNS1_3repE0EEENS1_30default_config_static_selectorELNS0_4arch9wavefront6targetE0EEEvT1_: ; @_ZN7rocprim17ROCPRIM_400000_NS6detail17trampoline_kernelINS0_14default_configENS1_29reduce_by_key_config_selectorIiiN6thrust23THRUST_200600_302600_NS4plusIiEEEEZZNS1_33reduce_by_key_impl_wrapped_configILNS1_25lookback_scan_determinismE0ES3_S9_NS6_18transform_iteratorI25linear_index_to_row_indexIiENS6_17counting_iteratorIiNS6_11use_defaultESG_SG_EESG_SG_EENS6_6detail15normal_iteratorINS6_10device_ptrIiEEEESN_SN_PmS8_NS6_8equal_toIiEEEE10hipError_tPvRmT2_T3_mT4_T5_T6_T7_T8_P12ihipStream_tbENKUlT_T0_E_clISt17integral_constantIbLb1EES17_IbLb0EEEEDaS13_S14_EUlS13_E_NS1_11comp_targetILNS1_3genE9ELNS1_11target_archE1100ELNS1_3gpuE3ELNS1_3repE0EEENS1_30default_config_static_selectorELNS0_4arch9wavefront6targetE0EEEvT1_
; %bb.0:
	.section	.rodata,"a",@progbits
	.p2align	6, 0x0
	.amdhsa_kernel _ZN7rocprim17ROCPRIM_400000_NS6detail17trampoline_kernelINS0_14default_configENS1_29reduce_by_key_config_selectorIiiN6thrust23THRUST_200600_302600_NS4plusIiEEEEZZNS1_33reduce_by_key_impl_wrapped_configILNS1_25lookback_scan_determinismE0ES3_S9_NS6_18transform_iteratorI25linear_index_to_row_indexIiENS6_17counting_iteratorIiNS6_11use_defaultESG_SG_EESG_SG_EENS6_6detail15normal_iteratorINS6_10device_ptrIiEEEESN_SN_PmS8_NS6_8equal_toIiEEEE10hipError_tPvRmT2_T3_mT4_T5_T6_T7_T8_P12ihipStream_tbENKUlT_T0_E_clISt17integral_constantIbLb1EES17_IbLb0EEEEDaS13_S14_EUlS13_E_NS1_11comp_targetILNS1_3genE9ELNS1_11target_archE1100ELNS1_3gpuE3ELNS1_3repE0EEENS1_30default_config_static_selectorELNS0_4arch9wavefront6targetE0EEEvT1_
		.amdhsa_group_segment_fixed_size 0
		.amdhsa_private_segment_fixed_size 0
		.amdhsa_kernarg_size 120
		.amdhsa_user_sgpr_count 6
		.amdhsa_user_sgpr_private_segment_buffer 1
		.amdhsa_user_sgpr_dispatch_ptr 0
		.amdhsa_user_sgpr_queue_ptr 0
		.amdhsa_user_sgpr_kernarg_segment_ptr 1
		.amdhsa_user_sgpr_dispatch_id 0
		.amdhsa_user_sgpr_flat_scratch_init 0
		.amdhsa_user_sgpr_private_segment_size 0
		.amdhsa_wavefront_size32 1
		.amdhsa_uses_dynamic_stack 0
		.amdhsa_system_sgpr_private_segment_wavefront_offset 0
		.amdhsa_system_sgpr_workgroup_id_x 1
		.amdhsa_system_sgpr_workgroup_id_y 0
		.amdhsa_system_sgpr_workgroup_id_z 0
		.amdhsa_system_sgpr_workgroup_info 0
		.amdhsa_system_vgpr_workitem_id 0
		.amdhsa_next_free_vgpr 1
		.amdhsa_next_free_sgpr 1
		.amdhsa_reserve_vcc 0
		.amdhsa_reserve_flat_scratch 0
		.amdhsa_float_round_mode_32 0
		.amdhsa_float_round_mode_16_64 0
		.amdhsa_float_denorm_mode_32 3
		.amdhsa_float_denorm_mode_16_64 3
		.amdhsa_dx10_clamp 1
		.amdhsa_ieee_mode 1
		.amdhsa_fp16_overflow 0
		.amdhsa_workgroup_processor_mode 1
		.amdhsa_memory_ordered 1
		.amdhsa_forward_progress 1
		.amdhsa_shared_vgpr_count 0
		.amdhsa_exception_fp_ieee_invalid_op 0
		.amdhsa_exception_fp_denorm_src 0
		.amdhsa_exception_fp_ieee_div_zero 0
		.amdhsa_exception_fp_ieee_overflow 0
		.amdhsa_exception_fp_ieee_underflow 0
		.amdhsa_exception_fp_ieee_inexact 0
		.amdhsa_exception_int_div_zero 0
	.end_amdhsa_kernel
	.section	.text._ZN7rocprim17ROCPRIM_400000_NS6detail17trampoline_kernelINS0_14default_configENS1_29reduce_by_key_config_selectorIiiN6thrust23THRUST_200600_302600_NS4plusIiEEEEZZNS1_33reduce_by_key_impl_wrapped_configILNS1_25lookback_scan_determinismE0ES3_S9_NS6_18transform_iteratorI25linear_index_to_row_indexIiENS6_17counting_iteratorIiNS6_11use_defaultESG_SG_EESG_SG_EENS6_6detail15normal_iteratorINS6_10device_ptrIiEEEESN_SN_PmS8_NS6_8equal_toIiEEEE10hipError_tPvRmT2_T3_mT4_T5_T6_T7_T8_P12ihipStream_tbENKUlT_T0_E_clISt17integral_constantIbLb1EES17_IbLb0EEEEDaS13_S14_EUlS13_E_NS1_11comp_targetILNS1_3genE9ELNS1_11target_archE1100ELNS1_3gpuE3ELNS1_3repE0EEENS1_30default_config_static_selectorELNS0_4arch9wavefront6targetE0EEEvT1_,"axG",@progbits,_ZN7rocprim17ROCPRIM_400000_NS6detail17trampoline_kernelINS0_14default_configENS1_29reduce_by_key_config_selectorIiiN6thrust23THRUST_200600_302600_NS4plusIiEEEEZZNS1_33reduce_by_key_impl_wrapped_configILNS1_25lookback_scan_determinismE0ES3_S9_NS6_18transform_iteratorI25linear_index_to_row_indexIiENS6_17counting_iteratorIiNS6_11use_defaultESG_SG_EESG_SG_EENS6_6detail15normal_iteratorINS6_10device_ptrIiEEEESN_SN_PmS8_NS6_8equal_toIiEEEE10hipError_tPvRmT2_T3_mT4_T5_T6_T7_T8_P12ihipStream_tbENKUlT_T0_E_clISt17integral_constantIbLb1EES17_IbLb0EEEEDaS13_S14_EUlS13_E_NS1_11comp_targetILNS1_3genE9ELNS1_11target_archE1100ELNS1_3gpuE3ELNS1_3repE0EEENS1_30default_config_static_selectorELNS0_4arch9wavefront6targetE0EEEvT1_,comdat
.Lfunc_end38:
	.size	_ZN7rocprim17ROCPRIM_400000_NS6detail17trampoline_kernelINS0_14default_configENS1_29reduce_by_key_config_selectorIiiN6thrust23THRUST_200600_302600_NS4plusIiEEEEZZNS1_33reduce_by_key_impl_wrapped_configILNS1_25lookback_scan_determinismE0ES3_S9_NS6_18transform_iteratorI25linear_index_to_row_indexIiENS6_17counting_iteratorIiNS6_11use_defaultESG_SG_EESG_SG_EENS6_6detail15normal_iteratorINS6_10device_ptrIiEEEESN_SN_PmS8_NS6_8equal_toIiEEEE10hipError_tPvRmT2_T3_mT4_T5_T6_T7_T8_P12ihipStream_tbENKUlT_T0_E_clISt17integral_constantIbLb1EES17_IbLb0EEEEDaS13_S14_EUlS13_E_NS1_11comp_targetILNS1_3genE9ELNS1_11target_archE1100ELNS1_3gpuE3ELNS1_3repE0EEENS1_30default_config_static_selectorELNS0_4arch9wavefront6targetE0EEEvT1_, .Lfunc_end38-_ZN7rocprim17ROCPRIM_400000_NS6detail17trampoline_kernelINS0_14default_configENS1_29reduce_by_key_config_selectorIiiN6thrust23THRUST_200600_302600_NS4plusIiEEEEZZNS1_33reduce_by_key_impl_wrapped_configILNS1_25lookback_scan_determinismE0ES3_S9_NS6_18transform_iteratorI25linear_index_to_row_indexIiENS6_17counting_iteratorIiNS6_11use_defaultESG_SG_EESG_SG_EENS6_6detail15normal_iteratorINS6_10device_ptrIiEEEESN_SN_PmS8_NS6_8equal_toIiEEEE10hipError_tPvRmT2_T3_mT4_T5_T6_T7_T8_P12ihipStream_tbENKUlT_T0_E_clISt17integral_constantIbLb1EES17_IbLb0EEEEDaS13_S14_EUlS13_E_NS1_11comp_targetILNS1_3genE9ELNS1_11target_archE1100ELNS1_3gpuE3ELNS1_3repE0EEENS1_30default_config_static_selectorELNS0_4arch9wavefront6targetE0EEEvT1_
                                        ; -- End function
	.set _ZN7rocprim17ROCPRIM_400000_NS6detail17trampoline_kernelINS0_14default_configENS1_29reduce_by_key_config_selectorIiiN6thrust23THRUST_200600_302600_NS4plusIiEEEEZZNS1_33reduce_by_key_impl_wrapped_configILNS1_25lookback_scan_determinismE0ES3_S9_NS6_18transform_iteratorI25linear_index_to_row_indexIiENS6_17counting_iteratorIiNS6_11use_defaultESG_SG_EESG_SG_EENS6_6detail15normal_iteratorINS6_10device_ptrIiEEEESN_SN_PmS8_NS6_8equal_toIiEEEE10hipError_tPvRmT2_T3_mT4_T5_T6_T7_T8_P12ihipStream_tbENKUlT_T0_E_clISt17integral_constantIbLb1EES17_IbLb0EEEEDaS13_S14_EUlS13_E_NS1_11comp_targetILNS1_3genE9ELNS1_11target_archE1100ELNS1_3gpuE3ELNS1_3repE0EEENS1_30default_config_static_selectorELNS0_4arch9wavefront6targetE0EEEvT1_.num_vgpr, 0
	.set _ZN7rocprim17ROCPRIM_400000_NS6detail17trampoline_kernelINS0_14default_configENS1_29reduce_by_key_config_selectorIiiN6thrust23THRUST_200600_302600_NS4plusIiEEEEZZNS1_33reduce_by_key_impl_wrapped_configILNS1_25lookback_scan_determinismE0ES3_S9_NS6_18transform_iteratorI25linear_index_to_row_indexIiENS6_17counting_iteratorIiNS6_11use_defaultESG_SG_EESG_SG_EENS6_6detail15normal_iteratorINS6_10device_ptrIiEEEESN_SN_PmS8_NS6_8equal_toIiEEEE10hipError_tPvRmT2_T3_mT4_T5_T6_T7_T8_P12ihipStream_tbENKUlT_T0_E_clISt17integral_constantIbLb1EES17_IbLb0EEEEDaS13_S14_EUlS13_E_NS1_11comp_targetILNS1_3genE9ELNS1_11target_archE1100ELNS1_3gpuE3ELNS1_3repE0EEENS1_30default_config_static_selectorELNS0_4arch9wavefront6targetE0EEEvT1_.num_agpr, 0
	.set _ZN7rocprim17ROCPRIM_400000_NS6detail17trampoline_kernelINS0_14default_configENS1_29reduce_by_key_config_selectorIiiN6thrust23THRUST_200600_302600_NS4plusIiEEEEZZNS1_33reduce_by_key_impl_wrapped_configILNS1_25lookback_scan_determinismE0ES3_S9_NS6_18transform_iteratorI25linear_index_to_row_indexIiENS6_17counting_iteratorIiNS6_11use_defaultESG_SG_EESG_SG_EENS6_6detail15normal_iteratorINS6_10device_ptrIiEEEESN_SN_PmS8_NS6_8equal_toIiEEEE10hipError_tPvRmT2_T3_mT4_T5_T6_T7_T8_P12ihipStream_tbENKUlT_T0_E_clISt17integral_constantIbLb1EES17_IbLb0EEEEDaS13_S14_EUlS13_E_NS1_11comp_targetILNS1_3genE9ELNS1_11target_archE1100ELNS1_3gpuE3ELNS1_3repE0EEENS1_30default_config_static_selectorELNS0_4arch9wavefront6targetE0EEEvT1_.numbered_sgpr, 0
	.set _ZN7rocprim17ROCPRIM_400000_NS6detail17trampoline_kernelINS0_14default_configENS1_29reduce_by_key_config_selectorIiiN6thrust23THRUST_200600_302600_NS4plusIiEEEEZZNS1_33reduce_by_key_impl_wrapped_configILNS1_25lookback_scan_determinismE0ES3_S9_NS6_18transform_iteratorI25linear_index_to_row_indexIiENS6_17counting_iteratorIiNS6_11use_defaultESG_SG_EESG_SG_EENS6_6detail15normal_iteratorINS6_10device_ptrIiEEEESN_SN_PmS8_NS6_8equal_toIiEEEE10hipError_tPvRmT2_T3_mT4_T5_T6_T7_T8_P12ihipStream_tbENKUlT_T0_E_clISt17integral_constantIbLb1EES17_IbLb0EEEEDaS13_S14_EUlS13_E_NS1_11comp_targetILNS1_3genE9ELNS1_11target_archE1100ELNS1_3gpuE3ELNS1_3repE0EEENS1_30default_config_static_selectorELNS0_4arch9wavefront6targetE0EEEvT1_.num_named_barrier, 0
	.set _ZN7rocprim17ROCPRIM_400000_NS6detail17trampoline_kernelINS0_14default_configENS1_29reduce_by_key_config_selectorIiiN6thrust23THRUST_200600_302600_NS4plusIiEEEEZZNS1_33reduce_by_key_impl_wrapped_configILNS1_25lookback_scan_determinismE0ES3_S9_NS6_18transform_iteratorI25linear_index_to_row_indexIiENS6_17counting_iteratorIiNS6_11use_defaultESG_SG_EESG_SG_EENS6_6detail15normal_iteratorINS6_10device_ptrIiEEEESN_SN_PmS8_NS6_8equal_toIiEEEE10hipError_tPvRmT2_T3_mT4_T5_T6_T7_T8_P12ihipStream_tbENKUlT_T0_E_clISt17integral_constantIbLb1EES17_IbLb0EEEEDaS13_S14_EUlS13_E_NS1_11comp_targetILNS1_3genE9ELNS1_11target_archE1100ELNS1_3gpuE3ELNS1_3repE0EEENS1_30default_config_static_selectorELNS0_4arch9wavefront6targetE0EEEvT1_.private_seg_size, 0
	.set _ZN7rocprim17ROCPRIM_400000_NS6detail17trampoline_kernelINS0_14default_configENS1_29reduce_by_key_config_selectorIiiN6thrust23THRUST_200600_302600_NS4plusIiEEEEZZNS1_33reduce_by_key_impl_wrapped_configILNS1_25lookback_scan_determinismE0ES3_S9_NS6_18transform_iteratorI25linear_index_to_row_indexIiENS6_17counting_iteratorIiNS6_11use_defaultESG_SG_EESG_SG_EENS6_6detail15normal_iteratorINS6_10device_ptrIiEEEESN_SN_PmS8_NS6_8equal_toIiEEEE10hipError_tPvRmT2_T3_mT4_T5_T6_T7_T8_P12ihipStream_tbENKUlT_T0_E_clISt17integral_constantIbLb1EES17_IbLb0EEEEDaS13_S14_EUlS13_E_NS1_11comp_targetILNS1_3genE9ELNS1_11target_archE1100ELNS1_3gpuE3ELNS1_3repE0EEENS1_30default_config_static_selectorELNS0_4arch9wavefront6targetE0EEEvT1_.uses_vcc, 0
	.set _ZN7rocprim17ROCPRIM_400000_NS6detail17trampoline_kernelINS0_14default_configENS1_29reduce_by_key_config_selectorIiiN6thrust23THRUST_200600_302600_NS4plusIiEEEEZZNS1_33reduce_by_key_impl_wrapped_configILNS1_25lookback_scan_determinismE0ES3_S9_NS6_18transform_iteratorI25linear_index_to_row_indexIiENS6_17counting_iteratorIiNS6_11use_defaultESG_SG_EESG_SG_EENS6_6detail15normal_iteratorINS6_10device_ptrIiEEEESN_SN_PmS8_NS6_8equal_toIiEEEE10hipError_tPvRmT2_T3_mT4_T5_T6_T7_T8_P12ihipStream_tbENKUlT_T0_E_clISt17integral_constantIbLb1EES17_IbLb0EEEEDaS13_S14_EUlS13_E_NS1_11comp_targetILNS1_3genE9ELNS1_11target_archE1100ELNS1_3gpuE3ELNS1_3repE0EEENS1_30default_config_static_selectorELNS0_4arch9wavefront6targetE0EEEvT1_.uses_flat_scratch, 0
	.set _ZN7rocprim17ROCPRIM_400000_NS6detail17trampoline_kernelINS0_14default_configENS1_29reduce_by_key_config_selectorIiiN6thrust23THRUST_200600_302600_NS4plusIiEEEEZZNS1_33reduce_by_key_impl_wrapped_configILNS1_25lookback_scan_determinismE0ES3_S9_NS6_18transform_iteratorI25linear_index_to_row_indexIiENS6_17counting_iteratorIiNS6_11use_defaultESG_SG_EESG_SG_EENS6_6detail15normal_iteratorINS6_10device_ptrIiEEEESN_SN_PmS8_NS6_8equal_toIiEEEE10hipError_tPvRmT2_T3_mT4_T5_T6_T7_T8_P12ihipStream_tbENKUlT_T0_E_clISt17integral_constantIbLb1EES17_IbLb0EEEEDaS13_S14_EUlS13_E_NS1_11comp_targetILNS1_3genE9ELNS1_11target_archE1100ELNS1_3gpuE3ELNS1_3repE0EEENS1_30default_config_static_selectorELNS0_4arch9wavefront6targetE0EEEvT1_.has_dyn_sized_stack, 0
	.set _ZN7rocprim17ROCPRIM_400000_NS6detail17trampoline_kernelINS0_14default_configENS1_29reduce_by_key_config_selectorIiiN6thrust23THRUST_200600_302600_NS4plusIiEEEEZZNS1_33reduce_by_key_impl_wrapped_configILNS1_25lookback_scan_determinismE0ES3_S9_NS6_18transform_iteratorI25linear_index_to_row_indexIiENS6_17counting_iteratorIiNS6_11use_defaultESG_SG_EESG_SG_EENS6_6detail15normal_iteratorINS6_10device_ptrIiEEEESN_SN_PmS8_NS6_8equal_toIiEEEE10hipError_tPvRmT2_T3_mT4_T5_T6_T7_T8_P12ihipStream_tbENKUlT_T0_E_clISt17integral_constantIbLb1EES17_IbLb0EEEEDaS13_S14_EUlS13_E_NS1_11comp_targetILNS1_3genE9ELNS1_11target_archE1100ELNS1_3gpuE3ELNS1_3repE0EEENS1_30default_config_static_selectorELNS0_4arch9wavefront6targetE0EEEvT1_.has_recursion, 0
	.set _ZN7rocprim17ROCPRIM_400000_NS6detail17trampoline_kernelINS0_14default_configENS1_29reduce_by_key_config_selectorIiiN6thrust23THRUST_200600_302600_NS4plusIiEEEEZZNS1_33reduce_by_key_impl_wrapped_configILNS1_25lookback_scan_determinismE0ES3_S9_NS6_18transform_iteratorI25linear_index_to_row_indexIiENS6_17counting_iteratorIiNS6_11use_defaultESG_SG_EESG_SG_EENS6_6detail15normal_iteratorINS6_10device_ptrIiEEEESN_SN_PmS8_NS6_8equal_toIiEEEE10hipError_tPvRmT2_T3_mT4_T5_T6_T7_T8_P12ihipStream_tbENKUlT_T0_E_clISt17integral_constantIbLb1EES17_IbLb0EEEEDaS13_S14_EUlS13_E_NS1_11comp_targetILNS1_3genE9ELNS1_11target_archE1100ELNS1_3gpuE3ELNS1_3repE0EEENS1_30default_config_static_selectorELNS0_4arch9wavefront6targetE0EEEvT1_.has_indirect_call, 0
	.section	.AMDGPU.csdata,"",@progbits
; Kernel info:
; codeLenInByte = 0
; TotalNumSgprs: 0
; NumVgprs: 0
; ScratchSize: 0
; MemoryBound: 0
; FloatMode: 240
; IeeeMode: 1
; LDSByteSize: 0 bytes/workgroup (compile time only)
; SGPRBlocks: 0
; VGPRBlocks: 0
; NumSGPRsForWavesPerEU: 1
; NumVGPRsForWavesPerEU: 1
; Occupancy: 16
; WaveLimiterHint : 0
; COMPUTE_PGM_RSRC2:SCRATCH_EN: 0
; COMPUTE_PGM_RSRC2:USER_SGPR: 6
; COMPUTE_PGM_RSRC2:TRAP_HANDLER: 0
; COMPUTE_PGM_RSRC2:TGID_X_EN: 1
; COMPUTE_PGM_RSRC2:TGID_Y_EN: 0
; COMPUTE_PGM_RSRC2:TGID_Z_EN: 0
; COMPUTE_PGM_RSRC2:TIDIG_COMP_CNT: 0
	.section	.text._ZN7rocprim17ROCPRIM_400000_NS6detail17trampoline_kernelINS0_14default_configENS1_29reduce_by_key_config_selectorIiiN6thrust23THRUST_200600_302600_NS4plusIiEEEEZZNS1_33reduce_by_key_impl_wrapped_configILNS1_25lookback_scan_determinismE0ES3_S9_NS6_18transform_iteratorI25linear_index_to_row_indexIiENS6_17counting_iteratorIiNS6_11use_defaultESG_SG_EESG_SG_EENS6_6detail15normal_iteratorINS6_10device_ptrIiEEEESN_SN_PmS8_NS6_8equal_toIiEEEE10hipError_tPvRmT2_T3_mT4_T5_T6_T7_T8_P12ihipStream_tbENKUlT_T0_E_clISt17integral_constantIbLb1EES17_IbLb0EEEEDaS13_S14_EUlS13_E_NS1_11comp_targetILNS1_3genE8ELNS1_11target_archE1030ELNS1_3gpuE2ELNS1_3repE0EEENS1_30default_config_static_selectorELNS0_4arch9wavefront6targetE0EEEvT1_,"axG",@progbits,_ZN7rocprim17ROCPRIM_400000_NS6detail17trampoline_kernelINS0_14default_configENS1_29reduce_by_key_config_selectorIiiN6thrust23THRUST_200600_302600_NS4plusIiEEEEZZNS1_33reduce_by_key_impl_wrapped_configILNS1_25lookback_scan_determinismE0ES3_S9_NS6_18transform_iteratorI25linear_index_to_row_indexIiENS6_17counting_iteratorIiNS6_11use_defaultESG_SG_EESG_SG_EENS6_6detail15normal_iteratorINS6_10device_ptrIiEEEESN_SN_PmS8_NS6_8equal_toIiEEEE10hipError_tPvRmT2_T3_mT4_T5_T6_T7_T8_P12ihipStream_tbENKUlT_T0_E_clISt17integral_constantIbLb1EES17_IbLb0EEEEDaS13_S14_EUlS13_E_NS1_11comp_targetILNS1_3genE8ELNS1_11target_archE1030ELNS1_3gpuE2ELNS1_3repE0EEENS1_30default_config_static_selectorELNS0_4arch9wavefront6targetE0EEEvT1_,comdat
	.protected	_ZN7rocprim17ROCPRIM_400000_NS6detail17trampoline_kernelINS0_14default_configENS1_29reduce_by_key_config_selectorIiiN6thrust23THRUST_200600_302600_NS4plusIiEEEEZZNS1_33reduce_by_key_impl_wrapped_configILNS1_25lookback_scan_determinismE0ES3_S9_NS6_18transform_iteratorI25linear_index_to_row_indexIiENS6_17counting_iteratorIiNS6_11use_defaultESG_SG_EESG_SG_EENS6_6detail15normal_iteratorINS6_10device_ptrIiEEEESN_SN_PmS8_NS6_8equal_toIiEEEE10hipError_tPvRmT2_T3_mT4_T5_T6_T7_T8_P12ihipStream_tbENKUlT_T0_E_clISt17integral_constantIbLb1EES17_IbLb0EEEEDaS13_S14_EUlS13_E_NS1_11comp_targetILNS1_3genE8ELNS1_11target_archE1030ELNS1_3gpuE2ELNS1_3repE0EEENS1_30default_config_static_selectorELNS0_4arch9wavefront6targetE0EEEvT1_ ; -- Begin function _ZN7rocprim17ROCPRIM_400000_NS6detail17trampoline_kernelINS0_14default_configENS1_29reduce_by_key_config_selectorIiiN6thrust23THRUST_200600_302600_NS4plusIiEEEEZZNS1_33reduce_by_key_impl_wrapped_configILNS1_25lookback_scan_determinismE0ES3_S9_NS6_18transform_iteratorI25linear_index_to_row_indexIiENS6_17counting_iteratorIiNS6_11use_defaultESG_SG_EESG_SG_EENS6_6detail15normal_iteratorINS6_10device_ptrIiEEEESN_SN_PmS8_NS6_8equal_toIiEEEE10hipError_tPvRmT2_T3_mT4_T5_T6_T7_T8_P12ihipStream_tbENKUlT_T0_E_clISt17integral_constantIbLb1EES17_IbLb0EEEEDaS13_S14_EUlS13_E_NS1_11comp_targetILNS1_3genE8ELNS1_11target_archE1030ELNS1_3gpuE2ELNS1_3repE0EEENS1_30default_config_static_selectorELNS0_4arch9wavefront6targetE0EEEvT1_
	.globl	_ZN7rocprim17ROCPRIM_400000_NS6detail17trampoline_kernelINS0_14default_configENS1_29reduce_by_key_config_selectorIiiN6thrust23THRUST_200600_302600_NS4plusIiEEEEZZNS1_33reduce_by_key_impl_wrapped_configILNS1_25lookback_scan_determinismE0ES3_S9_NS6_18transform_iteratorI25linear_index_to_row_indexIiENS6_17counting_iteratorIiNS6_11use_defaultESG_SG_EESG_SG_EENS6_6detail15normal_iteratorINS6_10device_ptrIiEEEESN_SN_PmS8_NS6_8equal_toIiEEEE10hipError_tPvRmT2_T3_mT4_T5_T6_T7_T8_P12ihipStream_tbENKUlT_T0_E_clISt17integral_constantIbLb1EES17_IbLb0EEEEDaS13_S14_EUlS13_E_NS1_11comp_targetILNS1_3genE8ELNS1_11target_archE1030ELNS1_3gpuE2ELNS1_3repE0EEENS1_30default_config_static_selectorELNS0_4arch9wavefront6targetE0EEEvT1_
	.p2align	8
	.type	_ZN7rocprim17ROCPRIM_400000_NS6detail17trampoline_kernelINS0_14default_configENS1_29reduce_by_key_config_selectorIiiN6thrust23THRUST_200600_302600_NS4plusIiEEEEZZNS1_33reduce_by_key_impl_wrapped_configILNS1_25lookback_scan_determinismE0ES3_S9_NS6_18transform_iteratorI25linear_index_to_row_indexIiENS6_17counting_iteratorIiNS6_11use_defaultESG_SG_EESG_SG_EENS6_6detail15normal_iteratorINS6_10device_ptrIiEEEESN_SN_PmS8_NS6_8equal_toIiEEEE10hipError_tPvRmT2_T3_mT4_T5_T6_T7_T8_P12ihipStream_tbENKUlT_T0_E_clISt17integral_constantIbLb1EES17_IbLb0EEEEDaS13_S14_EUlS13_E_NS1_11comp_targetILNS1_3genE8ELNS1_11target_archE1030ELNS1_3gpuE2ELNS1_3repE0EEENS1_30default_config_static_selectorELNS0_4arch9wavefront6targetE0EEEvT1_,@function
_ZN7rocprim17ROCPRIM_400000_NS6detail17trampoline_kernelINS0_14default_configENS1_29reduce_by_key_config_selectorIiiN6thrust23THRUST_200600_302600_NS4plusIiEEEEZZNS1_33reduce_by_key_impl_wrapped_configILNS1_25lookback_scan_determinismE0ES3_S9_NS6_18transform_iteratorI25linear_index_to_row_indexIiENS6_17counting_iteratorIiNS6_11use_defaultESG_SG_EESG_SG_EENS6_6detail15normal_iteratorINS6_10device_ptrIiEEEESN_SN_PmS8_NS6_8equal_toIiEEEE10hipError_tPvRmT2_T3_mT4_T5_T6_T7_T8_P12ihipStream_tbENKUlT_T0_E_clISt17integral_constantIbLb1EES17_IbLb0EEEEDaS13_S14_EUlS13_E_NS1_11comp_targetILNS1_3genE8ELNS1_11target_archE1030ELNS1_3gpuE2ELNS1_3repE0EEENS1_30default_config_static_selectorELNS0_4arch9wavefront6targetE0EEEvT1_: ; @_ZN7rocprim17ROCPRIM_400000_NS6detail17trampoline_kernelINS0_14default_configENS1_29reduce_by_key_config_selectorIiiN6thrust23THRUST_200600_302600_NS4plusIiEEEEZZNS1_33reduce_by_key_impl_wrapped_configILNS1_25lookback_scan_determinismE0ES3_S9_NS6_18transform_iteratorI25linear_index_to_row_indexIiENS6_17counting_iteratorIiNS6_11use_defaultESG_SG_EESG_SG_EENS6_6detail15normal_iteratorINS6_10device_ptrIiEEEESN_SN_PmS8_NS6_8equal_toIiEEEE10hipError_tPvRmT2_T3_mT4_T5_T6_T7_T8_P12ihipStream_tbENKUlT_T0_E_clISt17integral_constantIbLb1EES17_IbLb0EEEEDaS13_S14_EUlS13_E_NS1_11comp_targetILNS1_3genE8ELNS1_11target_archE1030ELNS1_3gpuE2ELNS1_3repE0EEENS1_30default_config_static_selectorELNS0_4arch9wavefront6targetE0EEEvT1_
; %bb.0:
	s_endpgm
	.section	.rodata,"a",@progbits
	.p2align	6, 0x0
	.amdhsa_kernel _ZN7rocprim17ROCPRIM_400000_NS6detail17trampoline_kernelINS0_14default_configENS1_29reduce_by_key_config_selectorIiiN6thrust23THRUST_200600_302600_NS4plusIiEEEEZZNS1_33reduce_by_key_impl_wrapped_configILNS1_25lookback_scan_determinismE0ES3_S9_NS6_18transform_iteratorI25linear_index_to_row_indexIiENS6_17counting_iteratorIiNS6_11use_defaultESG_SG_EESG_SG_EENS6_6detail15normal_iteratorINS6_10device_ptrIiEEEESN_SN_PmS8_NS6_8equal_toIiEEEE10hipError_tPvRmT2_T3_mT4_T5_T6_T7_T8_P12ihipStream_tbENKUlT_T0_E_clISt17integral_constantIbLb1EES17_IbLb0EEEEDaS13_S14_EUlS13_E_NS1_11comp_targetILNS1_3genE8ELNS1_11target_archE1030ELNS1_3gpuE2ELNS1_3repE0EEENS1_30default_config_static_selectorELNS0_4arch9wavefront6targetE0EEEvT1_
		.amdhsa_group_segment_fixed_size 0
		.amdhsa_private_segment_fixed_size 0
		.amdhsa_kernarg_size 120
		.amdhsa_user_sgpr_count 6
		.amdhsa_user_sgpr_private_segment_buffer 1
		.amdhsa_user_sgpr_dispatch_ptr 0
		.amdhsa_user_sgpr_queue_ptr 0
		.amdhsa_user_sgpr_kernarg_segment_ptr 1
		.amdhsa_user_sgpr_dispatch_id 0
		.amdhsa_user_sgpr_flat_scratch_init 0
		.amdhsa_user_sgpr_private_segment_size 0
		.amdhsa_wavefront_size32 1
		.amdhsa_uses_dynamic_stack 0
		.amdhsa_system_sgpr_private_segment_wavefront_offset 0
		.amdhsa_system_sgpr_workgroup_id_x 1
		.amdhsa_system_sgpr_workgroup_id_y 0
		.amdhsa_system_sgpr_workgroup_id_z 0
		.amdhsa_system_sgpr_workgroup_info 0
		.amdhsa_system_vgpr_workitem_id 0
		.amdhsa_next_free_vgpr 1
		.amdhsa_next_free_sgpr 1
		.amdhsa_reserve_vcc 0
		.amdhsa_reserve_flat_scratch 0
		.amdhsa_float_round_mode_32 0
		.amdhsa_float_round_mode_16_64 0
		.amdhsa_float_denorm_mode_32 3
		.amdhsa_float_denorm_mode_16_64 3
		.amdhsa_dx10_clamp 1
		.amdhsa_ieee_mode 1
		.amdhsa_fp16_overflow 0
		.amdhsa_workgroup_processor_mode 1
		.amdhsa_memory_ordered 1
		.amdhsa_forward_progress 1
		.amdhsa_shared_vgpr_count 0
		.amdhsa_exception_fp_ieee_invalid_op 0
		.amdhsa_exception_fp_denorm_src 0
		.amdhsa_exception_fp_ieee_div_zero 0
		.amdhsa_exception_fp_ieee_overflow 0
		.amdhsa_exception_fp_ieee_underflow 0
		.amdhsa_exception_fp_ieee_inexact 0
		.amdhsa_exception_int_div_zero 0
	.end_amdhsa_kernel
	.section	.text._ZN7rocprim17ROCPRIM_400000_NS6detail17trampoline_kernelINS0_14default_configENS1_29reduce_by_key_config_selectorIiiN6thrust23THRUST_200600_302600_NS4plusIiEEEEZZNS1_33reduce_by_key_impl_wrapped_configILNS1_25lookback_scan_determinismE0ES3_S9_NS6_18transform_iteratorI25linear_index_to_row_indexIiENS6_17counting_iteratorIiNS6_11use_defaultESG_SG_EESG_SG_EENS6_6detail15normal_iteratorINS6_10device_ptrIiEEEESN_SN_PmS8_NS6_8equal_toIiEEEE10hipError_tPvRmT2_T3_mT4_T5_T6_T7_T8_P12ihipStream_tbENKUlT_T0_E_clISt17integral_constantIbLb1EES17_IbLb0EEEEDaS13_S14_EUlS13_E_NS1_11comp_targetILNS1_3genE8ELNS1_11target_archE1030ELNS1_3gpuE2ELNS1_3repE0EEENS1_30default_config_static_selectorELNS0_4arch9wavefront6targetE0EEEvT1_,"axG",@progbits,_ZN7rocprim17ROCPRIM_400000_NS6detail17trampoline_kernelINS0_14default_configENS1_29reduce_by_key_config_selectorIiiN6thrust23THRUST_200600_302600_NS4plusIiEEEEZZNS1_33reduce_by_key_impl_wrapped_configILNS1_25lookback_scan_determinismE0ES3_S9_NS6_18transform_iteratorI25linear_index_to_row_indexIiENS6_17counting_iteratorIiNS6_11use_defaultESG_SG_EESG_SG_EENS6_6detail15normal_iteratorINS6_10device_ptrIiEEEESN_SN_PmS8_NS6_8equal_toIiEEEE10hipError_tPvRmT2_T3_mT4_T5_T6_T7_T8_P12ihipStream_tbENKUlT_T0_E_clISt17integral_constantIbLb1EES17_IbLb0EEEEDaS13_S14_EUlS13_E_NS1_11comp_targetILNS1_3genE8ELNS1_11target_archE1030ELNS1_3gpuE2ELNS1_3repE0EEENS1_30default_config_static_selectorELNS0_4arch9wavefront6targetE0EEEvT1_,comdat
.Lfunc_end39:
	.size	_ZN7rocprim17ROCPRIM_400000_NS6detail17trampoline_kernelINS0_14default_configENS1_29reduce_by_key_config_selectorIiiN6thrust23THRUST_200600_302600_NS4plusIiEEEEZZNS1_33reduce_by_key_impl_wrapped_configILNS1_25lookback_scan_determinismE0ES3_S9_NS6_18transform_iteratorI25linear_index_to_row_indexIiENS6_17counting_iteratorIiNS6_11use_defaultESG_SG_EESG_SG_EENS6_6detail15normal_iteratorINS6_10device_ptrIiEEEESN_SN_PmS8_NS6_8equal_toIiEEEE10hipError_tPvRmT2_T3_mT4_T5_T6_T7_T8_P12ihipStream_tbENKUlT_T0_E_clISt17integral_constantIbLb1EES17_IbLb0EEEEDaS13_S14_EUlS13_E_NS1_11comp_targetILNS1_3genE8ELNS1_11target_archE1030ELNS1_3gpuE2ELNS1_3repE0EEENS1_30default_config_static_selectorELNS0_4arch9wavefront6targetE0EEEvT1_, .Lfunc_end39-_ZN7rocprim17ROCPRIM_400000_NS6detail17trampoline_kernelINS0_14default_configENS1_29reduce_by_key_config_selectorIiiN6thrust23THRUST_200600_302600_NS4plusIiEEEEZZNS1_33reduce_by_key_impl_wrapped_configILNS1_25lookback_scan_determinismE0ES3_S9_NS6_18transform_iteratorI25linear_index_to_row_indexIiENS6_17counting_iteratorIiNS6_11use_defaultESG_SG_EESG_SG_EENS6_6detail15normal_iteratorINS6_10device_ptrIiEEEESN_SN_PmS8_NS6_8equal_toIiEEEE10hipError_tPvRmT2_T3_mT4_T5_T6_T7_T8_P12ihipStream_tbENKUlT_T0_E_clISt17integral_constantIbLb1EES17_IbLb0EEEEDaS13_S14_EUlS13_E_NS1_11comp_targetILNS1_3genE8ELNS1_11target_archE1030ELNS1_3gpuE2ELNS1_3repE0EEENS1_30default_config_static_selectorELNS0_4arch9wavefront6targetE0EEEvT1_
                                        ; -- End function
	.set _ZN7rocprim17ROCPRIM_400000_NS6detail17trampoline_kernelINS0_14default_configENS1_29reduce_by_key_config_selectorIiiN6thrust23THRUST_200600_302600_NS4plusIiEEEEZZNS1_33reduce_by_key_impl_wrapped_configILNS1_25lookback_scan_determinismE0ES3_S9_NS6_18transform_iteratorI25linear_index_to_row_indexIiENS6_17counting_iteratorIiNS6_11use_defaultESG_SG_EESG_SG_EENS6_6detail15normal_iteratorINS6_10device_ptrIiEEEESN_SN_PmS8_NS6_8equal_toIiEEEE10hipError_tPvRmT2_T3_mT4_T5_T6_T7_T8_P12ihipStream_tbENKUlT_T0_E_clISt17integral_constantIbLb1EES17_IbLb0EEEEDaS13_S14_EUlS13_E_NS1_11comp_targetILNS1_3genE8ELNS1_11target_archE1030ELNS1_3gpuE2ELNS1_3repE0EEENS1_30default_config_static_selectorELNS0_4arch9wavefront6targetE0EEEvT1_.num_vgpr, 0
	.set _ZN7rocprim17ROCPRIM_400000_NS6detail17trampoline_kernelINS0_14default_configENS1_29reduce_by_key_config_selectorIiiN6thrust23THRUST_200600_302600_NS4plusIiEEEEZZNS1_33reduce_by_key_impl_wrapped_configILNS1_25lookback_scan_determinismE0ES3_S9_NS6_18transform_iteratorI25linear_index_to_row_indexIiENS6_17counting_iteratorIiNS6_11use_defaultESG_SG_EESG_SG_EENS6_6detail15normal_iteratorINS6_10device_ptrIiEEEESN_SN_PmS8_NS6_8equal_toIiEEEE10hipError_tPvRmT2_T3_mT4_T5_T6_T7_T8_P12ihipStream_tbENKUlT_T0_E_clISt17integral_constantIbLb1EES17_IbLb0EEEEDaS13_S14_EUlS13_E_NS1_11comp_targetILNS1_3genE8ELNS1_11target_archE1030ELNS1_3gpuE2ELNS1_3repE0EEENS1_30default_config_static_selectorELNS0_4arch9wavefront6targetE0EEEvT1_.num_agpr, 0
	.set _ZN7rocprim17ROCPRIM_400000_NS6detail17trampoline_kernelINS0_14default_configENS1_29reduce_by_key_config_selectorIiiN6thrust23THRUST_200600_302600_NS4plusIiEEEEZZNS1_33reduce_by_key_impl_wrapped_configILNS1_25lookback_scan_determinismE0ES3_S9_NS6_18transform_iteratorI25linear_index_to_row_indexIiENS6_17counting_iteratorIiNS6_11use_defaultESG_SG_EESG_SG_EENS6_6detail15normal_iteratorINS6_10device_ptrIiEEEESN_SN_PmS8_NS6_8equal_toIiEEEE10hipError_tPvRmT2_T3_mT4_T5_T6_T7_T8_P12ihipStream_tbENKUlT_T0_E_clISt17integral_constantIbLb1EES17_IbLb0EEEEDaS13_S14_EUlS13_E_NS1_11comp_targetILNS1_3genE8ELNS1_11target_archE1030ELNS1_3gpuE2ELNS1_3repE0EEENS1_30default_config_static_selectorELNS0_4arch9wavefront6targetE0EEEvT1_.numbered_sgpr, 0
	.set _ZN7rocprim17ROCPRIM_400000_NS6detail17trampoline_kernelINS0_14default_configENS1_29reduce_by_key_config_selectorIiiN6thrust23THRUST_200600_302600_NS4plusIiEEEEZZNS1_33reduce_by_key_impl_wrapped_configILNS1_25lookback_scan_determinismE0ES3_S9_NS6_18transform_iteratorI25linear_index_to_row_indexIiENS6_17counting_iteratorIiNS6_11use_defaultESG_SG_EESG_SG_EENS6_6detail15normal_iteratorINS6_10device_ptrIiEEEESN_SN_PmS8_NS6_8equal_toIiEEEE10hipError_tPvRmT2_T3_mT4_T5_T6_T7_T8_P12ihipStream_tbENKUlT_T0_E_clISt17integral_constantIbLb1EES17_IbLb0EEEEDaS13_S14_EUlS13_E_NS1_11comp_targetILNS1_3genE8ELNS1_11target_archE1030ELNS1_3gpuE2ELNS1_3repE0EEENS1_30default_config_static_selectorELNS0_4arch9wavefront6targetE0EEEvT1_.num_named_barrier, 0
	.set _ZN7rocprim17ROCPRIM_400000_NS6detail17trampoline_kernelINS0_14default_configENS1_29reduce_by_key_config_selectorIiiN6thrust23THRUST_200600_302600_NS4plusIiEEEEZZNS1_33reduce_by_key_impl_wrapped_configILNS1_25lookback_scan_determinismE0ES3_S9_NS6_18transform_iteratorI25linear_index_to_row_indexIiENS6_17counting_iteratorIiNS6_11use_defaultESG_SG_EESG_SG_EENS6_6detail15normal_iteratorINS6_10device_ptrIiEEEESN_SN_PmS8_NS6_8equal_toIiEEEE10hipError_tPvRmT2_T3_mT4_T5_T6_T7_T8_P12ihipStream_tbENKUlT_T0_E_clISt17integral_constantIbLb1EES17_IbLb0EEEEDaS13_S14_EUlS13_E_NS1_11comp_targetILNS1_3genE8ELNS1_11target_archE1030ELNS1_3gpuE2ELNS1_3repE0EEENS1_30default_config_static_selectorELNS0_4arch9wavefront6targetE0EEEvT1_.private_seg_size, 0
	.set _ZN7rocprim17ROCPRIM_400000_NS6detail17trampoline_kernelINS0_14default_configENS1_29reduce_by_key_config_selectorIiiN6thrust23THRUST_200600_302600_NS4plusIiEEEEZZNS1_33reduce_by_key_impl_wrapped_configILNS1_25lookback_scan_determinismE0ES3_S9_NS6_18transform_iteratorI25linear_index_to_row_indexIiENS6_17counting_iteratorIiNS6_11use_defaultESG_SG_EESG_SG_EENS6_6detail15normal_iteratorINS6_10device_ptrIiEEEESN_SN_PmS8_NS6_8equal_toIiEEEE10hipError_tPvRmT2_T3_mT4_T5_T6_T7_T8_P12ihipStream_tbENKUlT_T0_E_clISt17integral_constantIbLb1EES17_IbLb0EEEEDaS13_S14_EUlS13_E_NS1_11comp_targetILNS1_3genE8ELNS1_11target_archE1030ELNS1_3gpuE2ELNS1_3repE0EEENS1_30default_config_static_selectorELNS0_4arch9wavefront6targetE0EEEvT1_.uses_vcc, 0
	.set _ZN7rocprim17ROCPRIM_400000_NS6detail17trampoline_kernelINS0_14default_configENS1_29reduce_by_key_config_selectorIiiN6thrust23THRUST_200600_302600_NS4plusIiEEEEZZNS1_33reduce_by_key_impl_wrapped_configILNS1_25lookback_scan_determinismE0ES3_S9_NS6_18transform_iteratorI25linear_index_to_row_indexIiENS6_17counting_iteratorIiNS6_11use_defaultESG_SG_EESG_SG_EENS6_6detail15normal_iteratorINS6_10device_ptrIiEEEESN_SN_PmS8_NS6_8equal_toIiEEEE10hipError_tPvRmT2_T3_mT4_T5_T6_T7_T8_P12ihipStream_tbENKUlT_T0_E_clISt17integral_constantIbLb1EES17_IbLb0EEEEDaS13_S14_EUlS13_E_NS1_11comp_targetILNS1_3genE8ELNS1_11target_archE1030ELNS1_3gpuE2ELNS1_3repE0EEENS1_30default_config_static_selectorELNS0_4arch9wavefront6targetE0EEEvT1_.uses_flat_scratch, 0
	.set _ZN7rocprim17ROCPRIM_400000_NS6detail17trampoline_kernelINS0_14default_configENS1_29reduce_by_key_config_selectorIiiN6thrust23THRUST_200600_302600_NS4plusIiEEEEZZNS1_33reduce_by_key_impl_wrapped_configILNS1_25lookback_scan_determinismE0ES3_S9_NS6_18transform_iteratorI25linear_index_to_row_indexIiENS6_17counting_iteratorIiNS6_11use_defaultESG_SG_EESG_SG_EENS6_6detail15normal_iteratorINS6_10device_ptrIiEEEESN_SN_PmS8_NS6_8equal_toIiEEEE10hipError_tPvRmT2_T3_mT4_T5_T6_T7_T8_P12ihipStream_tbENKUlT_T0_E_clISt17integral_constantIbLb1EES17_IbLb0EEEEDaS13_S14_EUlS13_E_NS1_11comp_targetILNS1_3genE8ELNS1_11target_archE1030ELNS1_3gpuE2ELNS1_3repE0EEENS1_30default_config_static_selectorELNS0_4arch9wavefront6targetE0EEEvT1_.has_dyn_sized_stack, 0
	.set _ZN7rocprim17ROCPRIM_400000_NS6detail17trampoline_kernelINS0_14default_configENS1_29reduce_by_key_config_selectorIiiN6thrust23THRUST_200600_302600_NS4plusIiEEEEZZNS1_33reduce_by_key_impl_wrapped_configILNS1_25lookback_scan_determinismE0ES3_S9_NS6_18transform_iteratorI25linear_index_to_row_indexIiENS6_17counting_iteratorIiNS6_11use_defaultESG_SG_EESG_SG_EENS6_6detail15normal_iteratorINS6_10device_ptrIiEEEESN_SN_PmS8_NS6_8equal_toIiEEEE10hipError_tPvRmT2_T3_mT4_T5_T6_T7_T8_P12ihipStream_tbENKUlT_T0_E_clISt17integral_constantIbLb1EES17_IbLb0EEEEDaS13_S14_EUlS13_E_NS1_11comp_targetILNS1_3genE8ELNS1_11target_archE1030ELNS1_3gpuE2ELNS1_3repE0EEENS1_30default_config_static_selectorELNS0_4arch9wavefront6targetE0EEEvT1_.has_recursion, 0
	.set _ZN7rocprim17ROCPRIM_400000_NS6detail17trampoline_kernelINS0_14default_configENS1_29reduce_by_key_config_selectorIiiN6thrust23THRUST_200600_302600_NS4plusIiEEEEZZNS1_33reduce_by_key_impl_wrapped_configILNS1_25lookback_scan_determinismE0ES3_S9_NS6_18transform_iteratorI25linear_index_to_row_indexIiENS6_17counting_iteratorIiNS6_11use_defaultESG_SG_EESG_SG_EENS6_6detail15normal_iteratorINS6_10device_ptrIiEEEESN_SN_PmS8_NS6_8equal_toIiEEEE10hipError_tPvRmT2_T3_mT4_T5_T6_T7_T8_P12ihipStream_tbENKUlT_T0_E_clISt17integral_constantIbLb1EES17_IbLb0EEEEDaS13_S14_EUlS13_E_NS1_11comp_targetILNS1_3genE8ELNS1_11target_archE1030ELNS1_3gpuE2ELNS1_3repE0EEENS1_30default_config_static_selectorELNS0_4arch9wavefront6targetE0EEEvT1_.has_indirect_call, 0
	.section	.AMDGPU.csdata,"",@progbits
; Kernel info:
; codeLenInByte = 4
; TotalNumSgprs: 0
; NumVgprs: 0
; ScratchSize: 0
; MemoryBound: 0
; FloatMode: 240
; IeeeMode: 1
; LDSByteSize: 0 bytes/workgroup (compile time only)
; SGPRBlocks: 0
; VGPRBlocks: 0
; NumSGPRsForWavesPerEU: 1
; NumVGPRsForWavesPerEU: 1
; Occupancy: 16
; WaveLimiterHint : 0
; COMPUTE_PGM_RSRC2:SCRATCH_EN: 0
; COMPUTE_PGM_RSRC2:USER_SGPR: 6
; COMPUTE_PGM_RSRC2:TRAP_HANDLER: 0
; COMPUTE_PGM_RSRC2:TGID_X_EN: 1
; COMPUTE_PGM_RSRC2:TGID_Y_EN: 0
; COMPUTE_PGM_RSRC2:TGID_Z_EN: 0
; COMPUTE_PGM_RSRC2:TIDIG_COMP_CNT: 0
	.section	.text._ZN7rocprim17ROCPRIM_400000_NS6detail25reduce_by_key_init_kernelINS1_19lookback_scan_stateINS0_5tupleIJjiEEELb0ELb1EEEiNS1_16block_id_wrapperIjLb1EEEEEvT_jbjPmPT0_T1_,"axG",@progbits,_ZN7rocprim17ROCPRIM_400000_NS6detail25reduce_by_key_init_kernelINS1_19lookback_scan_stateINS0_5tupleIJjiEEELb0ELb1EEEiNS1_16block_id_wrapperIjLb1EEEEEvT_jbjPmPT0_T1_,comdat
	.protected	_ZN7rocprim17ROCPRIM_400000_NS6detail25reduce_by_key_init_kernelINS1_19lookback_scan_stateINS0_5tupleIJjiEEELb0ELb1EEEiNS1_16block_id_wrapperIjLb1EEEEEvT_jbjPmPT0_T1_ ; -- Begin function _ZN7rocprim17ROCPRIM_400000_NS6detail25reduce_by_key_init_kernelINS1_19lookback_scan_stateINS0_5tupleIJjiEEELb0ELb1EEEiNS1_16block_id_wrapperIjLb1EEEEEvT_jbjPmPT0_T1_
	.globl	_ZN7rocprim17ROCPRIM_400000_NS6detail25reduce_by_key_init_kernelINS1_19lookback_scan_stateINS0_5tupleIJjiEEELb0ELb1EEEiNS1_16block_id_wrapperIjLb1EEEEEvT_jbjPmPT0_T1_
	.p2align	8
	.type	_ZN7rocprim17ROCPRIM_400000_NS6detail25reduce_by_key_init_kernelINS1_19lookback_scan_stateINS0_5tupleIJjiEEELb0ELb1EEEiNS1_16block_id_wrapperIjLb1EEEEEvT_jbjPmPT0_T1_,@function
_ZN7rocprim17ROCPRIM_400000_NS6detail25reduce_by_key_init_kernelINS1_19lookback_scan_stateINS0_5tupleIJjiEEELb0ELb1EEEiNS1_16block_id_wrapperIjLb1EEEEEvT_jbjPmPT0_T1_: ; @_ZN7rocprim17ROCPRIM_400000_NS6detail25reduce_by_key_init_kernelINS1_19lookback_scan_stateINS0_5tupleIJjiEEELb0ELb1EEEiNS1_16block_id_wrapperIjLb1EEEEEvT_jbjPmPT0_T1_
; %bb.0:
	s_clause 0x3
	s_load_dword s0, s[4:5], 0x3c
	s_load_dwordx8 s[8:15], s[4:5], 0x8
	s_load_dwordx2 s[16:17], s[4:5], 0x28
	s_load_dwordx2 s[2:3], s[4:5], 0x0
	s_mov_b32 s1, -1
	s_waitcnt lgkmcnt(0)
	s_and_b32 s0, s0, 0xffff
	v_mad_u64_u32 v[0:1], null, s6, s0, v[0:1]
	s_and_b32 s0, s9, 1
	s_cmp_eq_u32 s0, 0
	s_cbranch_scc0 .LBB40_8
; %bb.1:
	s_cmp_lt_u32 s10, s8
	s_mov_b32 s6, exec_lo
	s_cselect_b32 s0, s10, 0
	v_cmpx_eq_u32_e64 s0, v0
	s_cbranch_execz .LBB40_7
; %bb.2:
	s_add_i32 s0, s10, 32
	s_mov_b32 s1, 0
	v_mov_b32_e32 v5, 0
	s_lshl_b64 s[4:5], s[0:1], 4
	s_mov_b32 s0, exec_lo
	s_add_u32 s4, s2, s4
	s_addc_u32 s5, s3, s5
	v_mov_b32_e32 v1, s4
	v_mov_b32_e32 v2, s5
	;;#ASMSTART
	global_load_dwordx4 v[1:4], v[1:2] off glc dlc	
s_waitcnt vmcnt(0)
	;;#ASMEND
	v_and_b32_e32 v4, 0xff, v3
	v_cmpx_eq_u64_e32 0, v[4:5]
	s_cbranch_execz .LBB40_6
; %bb.3:
	v_mov_b32_e32 v7, s5
	v_mov_b32_e32 v6, s4
.LBB40_4:                               ; =>This Inner Loop Header: Depth=1
	;;#ASMSTART
	global_load_dwordx4 v[1:4], v[6:7] off glc dlc	
s_waitcnt vmcnt(0)
	;;#ASMEND
	v_and_b32_e32 v4, 0xff, v3
	v_cmp_ne_u64_e32 vcc_lo, 0, v[4:5]
	s_or_b32 s1, vcc_lo, s1
	s_andn2_b32 exec_lo, exec_lo, s1
	s_cbranch_execnz .LBB40_4
; %bb.5:
	s_or_b32 exec_lo, exec_lo, s1
.LBB40_6:
	s_or_b32 exec_lo, exec_lo, s0
	v_mov_b32_e32 v5, 0
	global_load_dwordx2 v[3:4], v5, s[12:13]
	s_waitcnt vmcnt(0)
	v_add_co_u32 v3, vcc_lo, v3, v1
	v_add_co_ci_u32_e64 v4, null, 0, v4, vcc_lo
	global_store_dwordx2 v5, v[3:4], s[12:13]
	global_store_dword v5, v2, s[14:15]
.LBB40_7:
	s_or_b32 exec_lo, exec_lo, s6
	s_mov_b32 s1, 0
.LBB40_8:
	v_cmp_eq_u32_e64 s0, 0, v0
	s_andn2_b32 vcc_lo, exec_lo, s1
	s_cbranch_vccnz .LBB40_12
; %bb.9:
	s_cmp_lg_u64 s[12:13], 0
	s_cselect_b32 s1, -1, 0
	s_and_b32 s1, s1, s0
	s_and_saveexec_b32 s0, s1
	s_cbranch_execz .LBB40_11
; %bb.10:
	v_mov_b32_e32 v1, 0
	v_mov_b32_e32 v2, v1
	global_store_dwordx2 v1, v[1:2], s[12:13]
.LBB40_11:
	s_or_b32 exec_lo, exec_lo, s0
.LBB40_12:
	s_mov_b32 s0, exec_lo
	v_cmpx_eq_u32_e32 0, v0
	s_cbranch_execz .LBB40_14
; %bb.13:
	v_mov_b32_e32 v1, 0
	global_store_dword v1, v1, s[16:17]
.LBB40_14:
	s_or_b32 exec_lo, exec_lo, s0
	s_mov_b32 s0, exec_lo
	v_cmpx_gt_u32_e64 s8, v0
	s_cbranch_execz .LBB40_16
; %bb.15:
	v_add_nc_u32_e32 v1, 32, v0
	v_mov_b32_e32 v2, 0
	v_lshlrev_b64 v[4:5], 4, v[1:2]
	v_mov_b32_e32 v1, v2
	v_mov_b32_e32 v3, v2
	v_add_co_u32 v6, vcc_lo, s2, v4
	v_add_co_ci_u32_e64 v7, null, s3, v5, vcc_lo
	v_mov_b32_e32 v4, v2
	global_store_dwordx4 v[6:7], v[1:4], off
.LBB40_16:
	s_or_b32 exec_lo, exec_lo, s0
	s_mov_b32 s0, exec_lo
	v_cmpx_gt_u32_e32 32, v0
	s_cbranch_execz .LBB40_18
; %bb.17:
	v_mov_b32_e32 v1, 0
	v_mov_b32_e32 v2, 0xff
	v_lshlrev_b64 v[3:4], 4, v[0:1]
	v_mov_b32_e32 v0, v1
	v_add_co_u32 v5, vcc_lo, s2, v3
	v_add_co_ci_u32_e64 v6, null, s3, v4, vcc_lo
	v_mov_b32_e32 v3, v1
	global_store_dwordx4 v[5:6], v[0:3], off
.LBB40_18:
	s_endpgm
	.section	.rodata,"a",@progbits
	.p2align	6, 0x0
	.amdhsa_kernel _ZN7rocprim17ROCPRIM_400000_NS6detail25reduce_by_key_init_kernelINS1_19lookback_scan_stateINS0_5tupleIJjiEEELb0ELb1EEEiNS1_16block_id_wrapperIjLb1EEEEEvT_jbjPmPT0_T1_
		.amdhsa_group_segment_fixed_size 0
		.amdhsa_private_segment_fixed_size 0
		.amdhsa_kernarg_size 304
		.amdhsa_user_sgpr_count 6
		.amdhsa_user_sgpr_private_segment_buffer 1
		.amdhsa_user_sgpr_dispatch_ptr 0
		.amdhsa_user_sgpr_queue_ptr 0
		.amdhsa_user_sgpr_kernarg_segment_ptr 1
		.amdhsa_user_sgpr_dispatch_id 0
		.amdhsa_user_sgpr_flat_scratch_init 0
		.amdhsa_user_sgpr_private_segment_size 0
		.amdhsa_wavefront_size32 1
		.amdhsa_uses_dynamic_stack 0
		.amdhsa_system_sgpr_private_segment_wavefront_offset 0
		.amdhsa_system_sgpr_workgroup_id_x 1
		.amdhsa_system_sgpr_workgroup_id_y 0
		.amdhsa_system_sgpr_workgroup_id_z 0
		.amdhsa_system_sgpr_workgroup_info 0
		.amdhsa_system_vgpr_workitem_id 0
		.amdhsa_next_free_vgpr 8
		.amdhsa_next_free_sgpr 18
		.amdhsa_reserve_vcc 1
		.amdhsa_reserve_flat_scratch 0
		.amdhsa_float_round_mode_32 0
		.amdhsa_float_round_mode_16_64 0
		.amdhsa_float_denorm_mode_32 3
		.amdhsa_float_denorm_mode_16_64 3
		.amdhsa_dx10_clamp 1
		.amdhsa_ieee_mode 1
		.amdhsa_fp16_overflow 0
		.amdhsa_workgroup_processor_mode 1
		.amdhsa_memory_ordered 1
		.amdhsa_forward_progress 1
		.amdhsa_shared_vgpr_count 0
		.amdhsa_exception_fp_ieee_invalid_op 0
		.amdhsa_exception_fp_denorm_src 0
		.amdhsa_exception_fp_ieee_div_zero 0
		.amdhsa_exception_fp_ieee_overflow 0
		.amdhsa_exception_fp_ieee_underflow 0
		.amdhsa_exception_fp_ieee_inexact 0
		.amdhsa_exception_int_div_zero 0
	.end_amdhsa_kernel
	.section	.text._ZN7rocprim17ROCPRIM_400000_NS6detail25reduce_by_key_init_kernelINS1_19lookback_scan_stateINS0_5tupleIJjiEEELb0ELb1EEEiNS1_16block_id_wrapperIjLb1EEEEEvT_jbjPmPT0_T1_,"axG",@progbits,_ZN7rocprim17ROCPRIM_400000_NS6detail25reduce_by_key_init_kernelINS1_19lookback_scan_stateINS0_5tupleIJjiEEELb0ELb1EEEiNS1_16block_id_wrapperIjLb1EEEEEvT_jbjPmPT0_T1_,comdat
.Lfunc_end40:
	.size	_ZN7rocprim17ROCPRIM_400000_NS6detail25reduce_by_key_init_kernelINS1_19lookback_scan_stateINS0_5tupleIJjiEEELb0ELb1EEEiNS1_16block_id_wrapperIjLb1EEEEEvT_jbjPmPT0_T1_, .Lfunc_end40-_ZN7rocprim17ROCPRIM_400000_NS6detail25reduce_by_key_init_kernelINS1_19lookback_scan_stateINS0_5tupleIJjiEEELb0ELb1EEEiNS1_16block_id_wrapperIjLb1EEEEEvT_jbjPmPT0_T1_
                                        ; -- End function
	.set _ZN7rocprim17ROCPRIM_400000_NS6detail25reduce_by_key_init_kernelINS1_19lookback_scan_stateINS0_5tupleIJjiEEELb0ELb1EEEiNS1_16block_id_wrapperIjLb1EEEEEvT_jbjPmPT0_T1_.num_vgpr, 8
	.set _ZN7rocprim17ROCPRIM_400000_NS6detail25reduce_by_key_init_kernelINS1_19lookback_scan_stateINS0_5tupleIJjiEEELb0ELb1EEEiNS1_16block_id_wrapperIjLb1EEEEEvT_jbjPmPT0_T1_.num_agpr, 0
	.set _ZN7rocprim17ROCPRIM_400000_NS6detail25reduce_by_key_init_kernelINS1_19lookback_scan_stateINS0_5tupleIJjiEEELb0ELb1EEEiNS1_16block_id_wrapperIjLb1EEEEEvT_jbjPmPT0_T1_.numbered_sgpr, 18
	.set _ZN7rocprim17ROCPRIM_400000_NS6detail25reduce_by_key_init_kernelINS1_19lookback_scan_stateINS0_5tupleIJjiEEELb0ELb1EEEiNS1_16block_id_wrapperIjLb1EEEEEvT_jbjPmPT0_T1_.num_named_barrier, 0
	.set _ZN7rocprim17ROCPRIM_400000_NS6detail25reduce_by_key_init_kernelINS1_19lookback_scan_stateINS0_5tupleIJjiEEELb0ELb1EEEiNS1_16block_id_wrapperIjLb1EEEEEvT_jbjPmPT0_T1_.private_seg_size, 0
	.set _ZN7rocprim17ROCPRIM_400000_NS6detail25reduce_by_key_init_kernelINS1_19lookback_scan_stateINS0_5tupleIJjiEEELb0ELb1EEEiNS1_16block_id_wrapperIjLb1EEEEEvT_jbjPmPT0_T1_.uses_vcc, 1
	.set _ZN7rocprim17ROCPRIM_400000_NS6detail25reduce_by_key_init_kernelINS1_19lookback_scan_stateINS0_5tupleIJjiEEELb0ELb1EEEiNS1_16block_id_wrapperIjLb1EEEEEvT_jbjPmPT0_T1_.uses_flat_scratch, 0
	.set _ZN7rocprim17ROCPRIM_400000_NS6detail25reduce_by_key_init_kernelINS1_19lookback_scan_stateINS0_5tupleIJjiEEELb0ELb1EEEiNS1_16block_id_wrapperIjLb1EEEEEvT_jbjPmPT0_T1_.has_dyn_sized_stack, 0
	.set _ZN7rocprim17ROCPRIM_400000_NS6detail25reduce_by_key_init_kernelINS1_19lookback_scan_stateINS0_5tupleIJjiEEELb0ELb1EEEiNS1_16block_id_wrapperIjLb1EEEEEvT_jbjPmPT0_T1_.has_recursion, 0
	.set _ZN7rocprim17ROCPRIM_400000_NS6detail25reduce_by_key_init_kernelINS1_19lookback_scan_stateINS0_5tupleIJjiEEELb0ELb1EEEiNS1_16block_id_wrapperIjLb1EEEEEvT_jbjPmPT0_T1_.has_indirect_call, 0
	.section	.AMDGPU.csdata,"",@progbits
; Kernel info:
; codeLenInByte = 548
; TotalNumSgprs: 20
; NumVgprs: 8
; ScratchSize: 0
; MemoryBound: 0
; FloatMode: 240
; IeeeMode: 1
; LDSByteSize: 0 bytes/workgroup (compile time only)
; SGPRBlocks: 0
; VGPRBlocks: 0
; NumSGPRsForWavesPerEU: 20
; NumVGPRsForWavesPerEU: 8
; Occupancy: 16
; WaveLimiterHint : 0
; COMPUTE_PGM_RSRC2:SCRATCH_EN: 0
; COMPUTE_PGM_RSRC2:USER_SGPR: 6
; COMPUTE_PGM_RSRC2:TRAP_HANDLER: 0
; COMPUTE_PGM_RSRC2:TGID_X_EN: 1
; COMPUTE_PGM_RSRC2:TGID_Y_EN: 0
; COMPUTE_PGM_RSRC2:TGID_Z_EN: 0
; COMPUTE_PGM_RSRC2:TIDIG_COMP_CNT: 0
	.section	.text._ZN7rocprim17ROCPRIM_400000_NS6detail17trampoline_kernelINS0_14default_configENS1_29reduce_by_key_config_selectorIiiN6thrust23THRUST_200600_302600_NS4plusIiEEEEZZNS1_33reduce_by_key_impl_wrapped_configILNS1_25lookback_scan_determinismE0ES3_S9_NS6_18transform_iteratorI25linear_index_to_row_indexIiENS6_17counting_iteratorIiNS6_11use_defaultESG_SG_EESG_SG_EENS6_6detail15normal_iteratorINS6_10device_ptrIiEEEESN_SN_PmS8_NS6_8equal_toIiEEEE10hipError_tPvRmT2_T3_mT4_T5_T6_T7_T8_P12ihipStream_tbENKUlT_T0_E_clISt17integral_constantIbLb0EES17_IbLb1EEEEDaS13_S14_EUlS13_E_NS1_11comp_targetILNS1_3genE0ELNS1_11target_archE4294967295ELNS1_3gpuE0ELNS1_3repE0EEENS1_30default_config_static_selectorELNS0_4arch9wavefront6targetE0EEEvT1_,"axG",@progbits,_ZN7rocprim17ROCPRIM_400000_NS6detail17trampoline_kernelINS0_14default_configENS1_29reduce_by_key_config_selectorIiiN6thrust23THRUST_200600_302600_NS4plusIiEEEEZZNS1_33reduce_by_key_impl_wrapped_configILNS1_25lookback_scan_determinismE0ES3_S9_NS6_18transform_iteratorI25linear_index_to_row_indexIiENS6_17counting_iteratorIiNS6_11use_defaultESG_SG_EESG_SG_EENS6_6detail15normal_iteratorINS6_10device_ptrIiEEEESN_SN_PmS8_NS6_8equal_toIiEEEE10hipError_tPvRmT2_T3_mT4_T5_T6_T7_T8_P12ihipStream_tbENKUlT_T0_E_clISt17integral_constantIbLb0EES17_IbLb1EEEEDaS13_S14_EUlS13_E_NS1_11comp_targetILNS1_3genE0ELNS1_11target_archE4294967295ELNS1_3gpuE0ELNS1_3repE0EEENS1_30default_config_static_selectorELNS0_4arch9wavefront6targetE0EEEvT1_,comdat
	.protected	_ZN7rocprim17ROCPRIM_400000_NS6detail17trampoline_kernelINS0_14default_configENS1_29reduce_by_key_config_selectorIiiN6thrust23THRUST_200600_302600_NS4plusIiEEEEZZNS1_33reduce_by_key_impl_wrapped_configILNS1_25lookback_scan_determinismE0ES3_S9_NS6_18transform_iteratorI25linear_index_to_row_indexIiENS6_17counting_iteratorIiNS6_11use_defaultESG_SG_EESG_SG_EENS6_6detail15normal_iteratorINS6_10device_ptrIiEEEESN_SN_PmS8_NS6_8equal_toIiEEEE10hipError_tPvRmT2_T3_mT4_T5_T6_T7_T8_P12ihipStream_tbENKUlT_T0_E_clISt17integral_constantIbLb0EES17_IbLb1EEEEDaS13_S14_EUlS13_E_NS1_11comp_targetILNS1_3genE0ELNS1_11target_archE4294967295ELNS1_3gpuE0ELNS1_3repE0EEENS1_30default_config_static_selectorELNS0_4arch9wavefront6targetE0EEEvT1_ ; -- Begin function _ZN7rocprim17ROCPRIM_400000_NS6detail17trampoline_kernelINS0_14default_configENS1_29reduce_by_key_config_selectorIiiN6thrust23THRUST_200600_302600_NS4plusIiEEEEZZNS1_33reduce_by_key_impl_wrapped_configILNS1_25lookback_scan_determinismE0ES3_S9_NS6_18transform_iteratorI25linear_index_to_row_indexIiENS6_17counting_iteratorIiNS6_11use_defaultESG_SG_EESG_SG_EENS6_6detail15normal_iteratorINS6_10device_ptrIiEEEESN_SN_PmS8_NS6_8equal_toIiEEEE10hipError_tPvRmT2_T3_mT4_T5_T6_T7_T8_P12ihipStream_tbENKUlT_T0_E_clISt17integral_constantIbLb0EES17_IbLb1EEEEDaS13_S14_EUlS13_E_NS1_11comp_targetILNS1_3genE0ELNS1_11target_archE4294967295ELNS1_3gpuE0ELNS1_3repE0EEENS1_30default_config_static_selectorELNS0_4arch9wavefront6targetE0EEEvT1_
	.globl	_ZN7rocprim17ROCPRIM_400000_NS6detail17trampoline_kernelINS0_14default_configENS1_29reduce_by_key_config_selectorIiiN6thrust23THRUST_200600_302600_NS4plusIiEEEEZZNS1_33reduce_by_key_impl_wrapped_configILNS1_25lookback_scan_determinismE0ES3_S9_NS6_18transform_iteratorI25linear_index_to_row_indexIiENS6_17counting_iteratorIiNS6_11use_defaultESG_SG_EESG_SG_EENS6_6detail15normal_iteratorINS6_10device_ptrIiEEEESN_SN_PmS8_NS6_8equal_toIiEEEE10hipError_tPvRmT2_T3_mT4_T5_T6_T7_T8_P12ihipStream_tbENKUlT_T0_E_clISt17integral_constantIbLb0EES17_IbLb1EEEEDaS13_S14_EUlS13_E_NS1_11comp_targetILNS1_3genE0ELNS1_11target_archE4294967295ELNS1_3gpuE0ELNS1_3repE0EEENS1_30default_config_static_selectorELNS0_4arch9wavefront6targetE0EEEvT1_
	.p2align	8
	.type	_ZN7rocprim17ROCPRIM_400000_NS6detail17trampoline_kernelINS0_14default_configENS1_29reduce_by_key_config_selectorIiiN6thrust23THRUST_200600_302600_NS4plusIiEEEEZZNS1_33reduce_by_key_impl_wrapped_configILNS1_25lookback_scan_determinismE0ES3_S9_NS6_18transform_iteratorI25linear_index_to_row_indexIiENS6_17counting_iteratorIiNS6_11use_defaultESG_SG_EESG_SG_EENS6_6detail15normal_iteratorINS6_10device_ptrIiEEEESN_SN_PmS8_NS6_8equal_toIiEEEE10hipError_tPvRmT2_T3_mT4_T5_T6_T7_T8_P12ihipStream_tbENKUlT_T0_E_clISt17integral_constantIbLb0EES17_IbLb1EEEEDaS13_S14_EUlS13_E_NS1_11comp_targetILNS1_3genE0ELNS1_11target_archE4294967295ELNS1_3gpuE0ELNS1_3repE0EEENS1_30default_config_static_selectorELNS0_4arch9wavefront6targetE0EEEvT1_,@function
_ZN7rocprim17ROCPRIM_400000_NS6detail17trampoline_kernelINS0_14default_configENS1_29reduce_by_key_config_selectorIiiN6thrust23THRUST_200600_302600_NS4plusIiEEEEZZNS1_33reduce_by_key_impl_wrapped_configILNS1_25lookback_scan_determinismE0ES3_S9_NS6_18transform_iteratorI25linear_index_to_row_indexIiENS6_17counting_iteratorIiNS6_11use_defaultESG_SG_EESG_SG_EENS6_6detail15normal_iteratorINS6_10device_ptrIiEEEESN_SN_PmS8_NS6_8equal_toIiEEEE10hipError_tPvRmT2_T3_mT4_T5_T6_T7_T8_P12ihipStream_tbENKUlT_T0_E_clISt17integral_constantIbLb0EES17_IbLb1EEEEDaS13_S14_EUlS13_E_NS1_11comp_targetILNS1_3genE0ELNS1_11target_archE4294967295ELNS1_3gpuE0ELNS1_3repE0EEENS1_30default_config_static_selectorELNS0_4arch9wavefront6targetE0EEEvT1_: ; @_ZN7rocprim17ROCPRIM_400000_NS6detail17trampoline_kernelINS0_14default_configENS1_29reduce_by_key_config_selectorIiiN6thrust23THRUST_200600_302600_NS4plusIiEEEEZZNS1_33reduce_by_key_impl_wrapped_configILNS1_25lookback_scan_determinismE0ES3_S9_NS6_18transform_iteratorI25linear_index_to_row_indexIiENS6_17counting_iteratorIiNS6_11use_defaultESG_SG_EESG_SG_EENS6_6detail15normal_iteratorINS6_10device_ptrIiEEEESN_SN_PmS8_NS6_8equal_toIiEEEE10hipError_tPvRmT2_T3_mT4_T5_T6_T7_T8_P12ihipStream_tbENKUlT_T0_E_clISt17integral_constantIbLb0EES17_IbLb1EEEEDaS13_S14_EUlS13_E_NS1_11comp_targetILNS1_3genE0ELNS1_11target_archE4294967295ELNS1_3gpuE0ELNS1_3repE0EEENS1_30default_config_static_selectorELNS0_4arch9wavefront6targetE0EEEvT1_
; %bb.0:
	.section	.rodata,"a",@progbits
	.p2align	6, 0x0
	.amdhsa_kernel _ZN7rocprim17ROCPRIM_400000_NS6detail17trampoline_kernelINS0_14default_configENS1_29reduce_by_key_config_selectorIiiN6thrust23THRUST_200600_302600_NS4plusIiEEEEZZNS1_33reduce_by_key_impl_wrapped_configILNS1_25lookback_scan_determinismE0ES3_S9_NS6_18transform_iteratorI25linear_index_to_row_indexIiENS6_17counting_iteratorIiNS6_11use_defaultESG_SG_EESG_SG_EENS6_6detail15normal_iteratorINS6_10device_ptrIiEEEESN_SN_PmS8_NS6_8equal_toIiEEEE10hipError_tPvRmT2_T3_mT4_T5_T6_T7_T8_P12ihipStream_tbENKUlT_T0_E_clISt17integral_constantIbLb0EES17_IbLb1EEEEDaS13_S14_EUlS13_E_NS1_11comp_targetILNS1_3genE0ELNS1_11target_archE4294967295ELNS1_3gpuE0ELNS1_3repE0EEENS1_30default_config_static_selectorELNS0_4arch9wavefront6targetE0EEEvT1_
		.amdhsa_group_segment_fixed_size 0
		.amdhsa_private_segment_fixed_size 0
		.amdhsa_kernarg_size 120
		.amdhsa_user_sgpr_count 6
		.amdhsa_user_sgpr_private_segment_buffer 1
		.amdhsa_user_sgpr_dispatch_ptr 0
		.amdhsa_user_sgpr_queue_ptr 0
		.amdhsa_user_sgpr_kernarg_segment_ptr 1
		.amdhsa_user_sgpr_dispatch_id 0
		.amdhsa_user_sgpr_flat_scratch_init 0
		.amdhsa_user_sgpr_private_segment_size 0
		.amdhsa_wavefront_size32 1
		.amdhsa_uses_dynamic_stack 0
		.amdhsa_system_sgpr_private_segment_wavefront_offset 0
		.amdhsa_system_sgpr_workgroup_id_x 1
		.amdhsa_system_sgpr_workgroup_id_y 0
		.amdhsa_system_sgpr_workgroup_id_z 0
		.amdhsa_system_sgpr_workgroup_info 0
		.amdhsa_system_vgpr_workitem_id 0
		.amdhsa_next_free_vgpr 1
		.amdhsa_next_free_sgpr 1
		.amdhsa_reserve_vcc 0
		.amdhsa_reserve_flat_scratch 0
		.amdhsa_float_round_mode_32 0
		.amdhsa_float_round_mode_16_64 0
		.amdhsa_float_denorm_mode_32 3
		.amdhsa_float_denorm_mode_16_64 3
		.amdhsa_dx10_clamp 1
		.amdhsa_ieee_mode 1
		.amdhsa_fp16_overflow 0
		.amdhsa_workgroup_processor_mode 1
		.amdhsa_memory_ordered 1
		.amdhsa_forward_progress 1
		.amdhsa_shared_vgpr_count 0
		.amdhsa_exception_fp_ieee_invalid_op 0
		.amdhsa_exception_fp_denorm_src 0
		.amdhsa_exception_fp_ieee_div_zero 0
		.amdhsa_exception_fp_ieee_overflow 0
		.amdhsa_exception_fp_ieee_underflow 0
		.amdhsa_exception_fp_ieee_inexact 0
		.amdhsa_exception_int_div_zero 0
	.end_amdhsa_kernel
	.section	.text._ZN7rocprim17ROCPRIM_400000_NS6detail17trampoline_kernelINS0_14default_configENS1_29reduce_by_key_config_selectorIiiN6thrust23THRUST_200600_302600_NS4plusIiEEEEZZNS1_33reduce_by_key_impl_wrapped_configILNS1_25lookback_scan_determinismE0ES3_S9_NS6_18transform_iteratorI25linear_index_to_row_indexIiENS6_17counting_iteratorIiNS6_11use_defaultESG_SG_EESG_SG_EENS6_6detail15normal_iteratorINS6_10device_ptrIiEEEESN_SN_PmS8_NS6_8equal_toIiEEEE10hipError_tPvRmT2_T3_mT4_T5_T6_T7_T8_P12ihipStream_tbENKUlT_T0_E_clISt17integral_constantIbLb0EES17_IbLb1EEEEDaS13_S14_EUlS13_E_NS1_11comp_targetILNS1_3genE0ELNS1_11target_archE4294967295ELNS1_3gpuE0ELNS1_3repE0EEENS1_30default_config_static_selectorELNS0_4arch9wavefront6targetE0EEEvT1_,"axG",@progbits,_ZN7rocprim17ROCPRIM_400000_NS6detail17trampoline_kernelINS0_14default_configENS1_29reduce_by_key_config_selectorIiiN6thrust23THRUST_200600_302600_NS4plusIiEEEEZZNS1_33reduce_by_key_impl_wrapped_configILNS1_25lookback_scan_determinismE0ES3_S9_NS6_18transform_iteratorI25linear_index_to_row_indexIiENS6_17counting_iteratorIiNS6_11use_defaultESG_SG_EESG_SG_EENS6_6detail15normal_iteratorINS6_10device_ptrIiEEEESN_SN_PmS8_NS6_8equal_toIiEEEE10hipError_tPvRmT2_T3_mT4_T5_T6_T7_T8_P12ihipStream_tbENKUlT_T0_E_clISt17integral_constantIbLb0EES17_IbLb1EEEEDaS13_S14_EUlS13_E_NS1_11comp_targetILNS1_3genE0ELNS1_11target_archE4294967295ELNS1_3gpuE0ELNS1_3repE0EEENS1_30default_config_static_selectorELNS0_4arch9wavefront6targetE0EEEvT1_,comdat
.Lfunc_end41:
	.size	_ZN7rocprim17ROCPRIM_400000_NS6detail17trampoline_kernelINS0_14default_configENS1_29reduce_by_key_config_selectorIiiN6thrust23THRUST_200600_302600_NS4plusIiEEEEZZNS1_33reduce_by_key_impl_wrapped_configILNS1_25lookback_scan_determinismE0ES3_S9_NS6_18transform_iteratorI25linear_index_to_row_indexIiENS6_17counting_iteratorIiNS6_11use_defaultESG_SG_EESG_SG_EENS6_6detail15normal_iteratorINS6_10device_ptrIiEEEESN_SN_PmS8_NS6_8equal_toIiEEEE10hipError_tPvRmT2_T3_mT4_T5_T6_T7_T8_P12ihipStream_tbENKUlT_T0_E_clISt17integral_constantIbLb0EES17_IbLb1EEEEDaS13_S14_EUlS13_E_NS1_11comp_targetILNS1_3genE0ELNS1_11target_archE4294967295ELNS1_3gpuE0ELNS1_3repE0EEENS1_30default_config_static_selectorELNS0_4arch9wavefront6targetE0EEEvT1_, .Lfunc_end41-_ZN7rocprim17ROCPRIM_400000_NS6detail17trampoline_kernelINS0_14default_configENS1_29reduce_by_key_config_selectorIiiN6thrust23THRUST_200600_302600_NS4plusIiEEEEZZNS1_33reduce_by_key_impl_wrapped_configILNS1_25lookback_scan_determinismE0ES3_S9_NS6_18transform_iteratorI25linear_index_to_row_indexIiENS6_17counting_iteratorIiNS6_11use_defaultESG_SG_EESG_SG_EENS6_6detail15normal_iteratorINS6_10device_ptrIiEEEESN_SN_PmS8_NS6_8equal_toIiEEEE10hipError_tPvRmT2_T3_mT4_T5_T6_T7_T8_P12ihipStream_tbENKUlT_T0_E_clISt17integral_constantIbLb0EES17_IbLb1EEEEDaS13_S14_EUlS13_E_NS1_11comp_targetILNS1_3genE0ELNS1_11target_archE4294967295ELNS1_3gpuE0ELNS1_3repE0EEENS1_30default_config_static_selectorELNS0_4arch9wavefront6targetE0EEEvT1_
                                        ; -- End function
	.set _ZN7rocprim17ROCPRIM_400000_NS6detail17trampoline_kernelINS0_14default_configENS1_29reduce_by_key_config_selectorIiiN6thrust23THRUST_200600_302600_NS4plusIiEEEEZZNS1_33reduce_by_key_impl_wrapped_configILNS1_25lookback_scan_determinismE0ES3_S9_NS6_18transform_iteratorI25linear_index_to_row_indexIiENS6_17counting_iteratorIiNS6_11use_defaultESG_SG_EESG_SG_EENS6_6detail15normal_iteratorINS6_10device_ptrIiEEEESN_SN_PmS8_NS6_8equal_toIiEEEE10hipError_tPvRmT2_T3_mT4_T5_T6_T7_T8_P12ihipStream_tbENKUlT_T0_E_clISt17integral_constantIbLb0EES17_IbLb1EEEEDaS13_S14_EUlS13_E_NS1_11comp_targetILNS1_3genE0ELNS1_11target_archE4294967295ELNS1_3gpuE0ELNS1_3repE0EEENS1_30default_config_static_selectorELNS0_4arch9wavefront6targetE0EEEvT1_.num_vgpr, 0
	.set _ZN7rocprim17ROCPRIM_400000_NS6detail17trampoline_kernelINS0_14default_configENS1_29reduce_by_key_config_selectorIiiN6thrust23THRUST_200600_302600_NS4plusIiEEEEZZNS1_33reduce_by_key_impl_wrapped_configILNS1_25lookback_scan_determinismE0ES3_S9_NS6_18transform_iteratorI25linear_index_to_row_indexIiENS6_17counting_iteratorIiNS6_11use_defaultESG_SG_EESG_SG_EENS6_6detail15normal_iteratorINS6_10device_ptrIiEEEESN_SN_PmS8_NS6_8equal_toIiEEEE10hipError_tPvRmT2_T3_mT4_T5_T6_T7_T8_P12ihipStream_tbENKUlT_T0_E_clISt17integral_constantIbLb0EES17_IbLb1EEEEDaS13_S14_EUlS13_E_NS1_11comp_targetILNS1_3genE0ELNS1_11target_archE4294967295ELNS1_3gpuE0ELNS1_3repE0EEENS1_30default_config_static_selectorELNS0_4arch9wavefront6targetE0EEEvT1_.num_agpr, 0
	.set _ZN7rocprim17ROCPRIM_400000_NS6detail17trampoline_kernelINS0_14default_configENS1_29reduce_by_key_config_selectorIiiN6thrust23THRUST_200600_302600_NS4plusIiEEEEZZNS1_33reduce_by_key_impl_wrapped_configILNS1_25lookback_scan_determinismE0ES3_S9_NS6_18transform_iteratorI25linear_index_to_row_indexIiENS6_17counting_iteratorIiNS6_11use_defaultESG_SG_EESG_SG_EENS6_6detail15normal_iteratorINS6_10device_ptrIiEEEESN_SN_PmS8_NS6_8equal_toIiEEEE10hipError_tPvRmT2_T3_mT4_T5_T6_T7_T8_P12ihipStream_tbENKUlT_T0_E_clISt17integral_constantIbLb0EES17_IbLb1EEEEDaS13_S14_EUlS13_E_NS1_11comp_targetILNS1_3genE0ELNS1_11target_archE4294967295ELNS1_3gpuE0ELNS1_3repE0EEENS1_30default_config_static_selectorELNS0_4arch9wavefront6targetE0EEEvT1_.numbered_sgpr, 0
	.set _ZN7rocprim17ROCPRIM_400000_NS6detail17trampoline_kernelINS0_14default_configENS1_29reduce_by_key_config_selectorIiiN6thrust23THRUST_200600_302600_NS4plusIiEEEEZZNS1_33reduce_by_key_impl_wrapped_configILNS1_25lookback_scan_determinismE0ES3_S9_NS6_18transform_iteratorI25linear_index_to_row_indexIiENS6_17counting_iteratorIiNS6_11use_defaultESG_SG_EESG_SG_EENS6_6detail15normal_iteratorINS6_10device_ptrIiEEEESN_SN_PmS8_NS6_8equal_toIiEEEE10hipError_tPvRmT2_T3_mT4_T5_T6_T7_T8_P12ihipStream_tbENKUlT_T0_E_clISt17integral_constantIbLb0EES17_IbLb1EEEEDaS13_S14_EUlS13_E_NS1_11comp_targetILNS1_3genE0ELNS1_11target_archE4294967295ELNS1_3gpuE0ELNS1_3repE0EEENS1_30default_config_static_selectorELNS0_4arch9wavefront6targetE0EEEvT1_.num_named_barrier, 0
	.set _ZN7rocprim17ROCPRIM_400000_NS6detail17trampoline_kernelINS0_14default_configENS1_29reduce_by_key_config_selectorIiiN6thrust23THRUST_200600_302600_NS4plusIiEEEEZZNS1_33reduce_by_key_impl_wrapped_configILNS1_25lookback_scan_determinismE0ES3_S9_NS6_18transform_iteratorI25linear_index_to_row_indexIiENS6_17counting_iteratorIiNS6_11use_defaultESG_SG_EESG_SG_EENS6_6detail15normal_iteratorINS6_10device_ptrIiEEEESN_SN_PmS8_NS6_8equal_toIiEEEE10hipError_tPvRmT2_T3_mT4_T5_T6_T7_T8_P12ihipStream_tbENKUlT_T0_E_clISt17integral_constantIbLb0EES17_IbLb1EEEEDaS13_S14_EUlS13_E_NS1_11comp_targetILNS1_3genE0ELNS1_11target_archE4294967295ELNS1_3gpuE0ELNS1_3repE0EEENS1_30default_config_static_selectorELNS0_4arch9wavefront6targetE0EEEvT1_.private_seg_size, 0
	.set _ZN7rocprim17ROCPRIM_400000_NS6detail17trampoline_kernelINS0_14default_configENS1_29reduce_by_key_config_selectorIiiN6thrust23THRUST_200600_302600_NS4plusIiEEEEZZNS1_33reduce_by_key_impl_wrapped_configILNS1_25lookback_scan_determinismE0ES3_S9_NS6_18transform_iteratorI25linear_index_to_row_indexIiENS6_17counting_iteratorIiNS6_11use_defaultESG_SG_EESG_SG_EENS6_6detail15normal_iteratorINS6_10device_ptrIiEEEESN_SN_PmS8_NS6_8equal_toIiEEEE10hipError_tPvRmT2_T3_mT4_T5_T6_T7_T8_P12ihipStream_tbENKUlT_T0_E_clISt17integral_constantIbLb0EES17_IbLb1EEEEDaS13_S14_EUlS13_E_NS1_11comp_targetILNS1_3genE0ELNS1_11target_archE4294967295ELNS1_3gpuE0ELNS1_3repE0EEENS1_30default_config_static_selectorELNS0_4arch9wavefront6targetE0EEEvT1_.uses_vcc, 0
	.set _ZN7rocprim17ROCPRIM_400000_NS6detail17trampoline_kernelINS0_14default_configENS1_29reduce_by_key_config_selectorIiiN6thrust23THRUST_200600_302600_NS4plusIiEEEEZZNS1_33reduce_by_key_impl_wrapped_configILNS1_25lookback_scan_determinismE0ES3_S9_NS6_18transform_iteratorI25linear_index_to_row_indexIiENS6_17counting_iteratorIiNS6_11use_defaultESG_SG_EESG_SG_EENS6_6detail15normal_iteratorINS6_10device_ptrIiEEEESN_SN_PmS8_NS6_8equal_toIiEEEE10hipError_tPvRmT2_T3_mT4_T5_T6_T7_T8_P12ihipStream_tbENKUlT_T0_E_clISt17integral_constantIbLb0EES17_IbLb1EEEEDaS13_S14_EUlS13_E_NS1_11comp_targetILNS1_3genE0ELNS1_11target_archE4294967295ELNS1_3gpuE0ELNS1_3repE0EEENS1_30default_config_static_selectorELNS0_4arch9wavefront6targetE0EEEvT1_.uses_flat_scratch, 0
	.set _ZN7rocprim17ROCPRIM_400000_NS6detail17trampoline_kernelINS0_14default_configENS1_29reduce_by_key_config_selectorIiiN6thrust23THRUST_200600_302600_NS4plusIiEEEEZZNS1_33reduce_by_key_impl_wrapped_configILNS1_25lookback_scan_determinismE0ES3_S9_NS6_18transform_iteratorI25linear_index_to_row_indexIiENS6_17counting_iteratorIiNS6_11use_defaultESG_SG_EESG_SG_EENS6_6detail15normal_iteratorINS6_10device_ptrIiEEEESN_SN_PmS8_NS6_8equal_toIiEEEE10hipError_tPvRmT2_T3_mT4_T5_T6_T7_T8_P12ihipStream_tbENKUlT_T0_E_clISt17integral_constantIbLb0EES17_IbLb1EEEEDaS13_S14_EUlS13_E_NS1_11comp_targetILNS1_3genE0ELNS1_11target_archE4294967295ELNS1_3gpuE0ELNS1_3repE0EEENS1_30default_config_static_selectorELNS0_4arch9wavefront6targetE0EEEvT1_.has_dyn_sized_stack, 0
	.set _ZN7rocprim17ROCPRIM_400000_NS6detail17trampoline_kernelINS0_14default_configENS1_29reduce_by_key_config_selectorIiiN6thrust23THRUST_200600_302600_NS4plusIiEEEEZZNS1_33reduce_by_key_impl_wrapped_configILNS1_25lookback_scan_determinismE0ES3_S9_NS6_18transform_iteratorI25linear_index_to_row_indexIiENS6_17counting_iteratorIiNS6_11use_defaultESG_SG_EESG_SG_EENS6_6detail15normal_iteratorINS6_10device_ptrIiEEEESN_SN_PmS8_NS6_8equal_toIiEEEE10hipError_tPvRmT2_T3_mT4_T5_T6_T7_T8_P12ihipStream_tbENKUlT_T0_E_clISt17integral_constantIbLb0EES17_IbLb1EEEEDaS13_S14_EUlS13_E_NS1_11comp_targetILNS1_3genE0ELNS1_11target_archE4294967295ELNS1_3gpuE0ELNS1_3repE0EEENS1_30default_config_static_selectorELNS0_4arch9wavefront6targetE0EEEvT1_.has_recursion, 0
	.set _ZN7rocprim17ROCPRIM_400000_NS6detail17trampoline_kernelINS0_14default_configENS1_29reduce_by_key_config_selectorIiiN6thrust23THRUST_200600_302600_NS4plusIiEEEEZZNS1_33reduce_by_key_impl_wrapped_configILNS1_25lookback_scan_determinismE0ES3_S9_NS6_18transform_iteratorI25linear_index_to_row_indexIiENS6_17counting_iteratorIiNS6_11use_defaultESG_SG_EESG_SG_EENS6_6detail15normal_iteratorINS6_10device_ptrIiEEEESN_SN_PmS8_NS6_8equal_toIiEEEE10hipError_tPvRmT2_T3_mT4_T5_T6_T7_T8_P12ihipStream_tbENKUlT_T0_E_clISt17integral_constantIbLb0EES17_IbLb1EEEEDaS13_S14_EUlS13_E_NS1_11comp_targetILNS1_3genE0ELNS1_11target_archE4294967295ELNS1_3gpuE0ELNS1_3repE0EEENS1_30default_config_static_selectorELNS0_4arch9wavefront6targetE0EEEvT1_.has_indirect_call, 0
	.section	.AMDGPU.csdata,"",@progbits
; Kernel info:
; codeLenInByte = 0
; TotalNumSgprs: 0
; NumVgprs: 0
; ScratchSize: 0
; MemoryBound: 0
; FloatMode: 240
; IeeeMode: 1
; LDSByteSize: 0 bytes/workgroup (compile time only)
; SGPRBlocks: 0
; VGPRBlocks: 0
; NumSGPRsForWavesPerEU: 1
; NumVGPRsForWavesPerEU: 1
; Occupancy: 16
; WaveLimiterHint : 0
; COMPUTE_PGM_RSRC2:SCRATCH_EN: 0
; COMPUTE_PGM_RSRC2:USER_SGPR: 6
; COMPUTE_PGM_RSRC2:TRAP_HANDLER: 0
; COMPUTE_PGM_RSRC2:TGID_X_EN: 1
; COMPUTE_PGM_RSRC2:TGID_Y_EN: 0
; COMPUTE_PGM_RSRC2:TGID_Z_EN: 0
; COMPUTE_PGM_RSRC2:TIDIG_COMP_CNT: 0
	.section	.text._ZN7rocprim17ROCPRIM_400000_NS6detail17trampoline_kernelINS0_14default_configENS1_29reduce_by_key_config_selectorIiiN6thrust23THRUST_200600_302600_NS4plusIiEEEEZZNS1_33reduce_by_key_impl_wrapped_configILNS1_25lookback_scan_determinismE0ES3_S9_NS6_18transform_iteratorI25linear_index_to_row_indexIiENS6_17counting_iteratorIiNS6_11use_defaultESG_SG_EESG_SG_EENS6_6detail15normal_iteratorINS6_10device_ptrIiEEEESN_SN_PmS8_NS6_8equal_toIiEEEE10hipError_tPvRmT2_T3_mT4_T5_T6_T7_T8_P12ihipStream_tbENKUlT_T0_E_clISt17integral_constantIbLb0EES17_IbLb1EEEEDaS13_S14_EUlS13_E_NS1_11comp_targetILNS1_3genE5ELNS1_11target_archE942ELNS1_3gpuE9ELNS1_3repE0EEENS1_30default_config_static_selectorELNS0_4arch9wavefront6targetE0EEEvT1_,"axG",@progbits,_ZN7rocprim17ROCPRIM_400000_NS6detail17trampoline_kernelINS0_14default_configENS1_29reduce_by_key_config_selectorIiiN6thrust23THRUST_200600_302600_NS4plusIiEEEEZZNS1_33reduce_by_key_impl_wrapped_configILNS1_25lookback_scan_determinismE0ES3_S9_NS6_18transform_iteratorI25linear_index_to_row_indexIiENS6_17counting_iteratorIiNS6_11use_defaultESG_SG_EESG_SG_EENS6_6detail15normal_iteratorINS6_10device_ptrIiEEEESN_SN_PmS8_NS6_8equal_toIiEEEE10hipError_tPvRmT2_T3_mT4_T5_T6_T7_T8_P12ihipStream_tbENKUlT_T0_E_clISt17integral_constantIbLb0EES17_IbLb1EEEEDaS13_S14_EUlS13_E_NS1_11comp_targetILNS1_3genE5ELNS1_11target_archE942ELNS1_3gpuE9ELNS1_3repE0EEENS1_30default_config_static_selectorELNS0_4arch9wavefront6targetE0EEEvT1_,comdat
	.protected	_ZN7rocprim17ROCPRIM_400000_NS6detail17trampoline_kernelINS0_14default_configENS1_29reduce_by_key_config_selectorIiiN6thrust23THRUST_200600_302600_NS4plusIiEEEEZZNS1_33reduce_by_key_impl_wrapped_configILNS1_25lookback_scan_determinismE0ES3_S9_NS6_18transform_iteratorI25linear_index_to_row_indexIiENS6_17counting_iteratorIiNS6_11use_defaultESG_SG_EESG_SG_EENS6_6detail15normal_iteratorINS6_10device_ptrIiEEEESN_SN_PmS8_NS6_8equal_toIiEEEE10hipError_tPvRmT2_T3_mT4_T5_T6_T7_T8_P12ihipStream_tbENKUlT_T0_E_clISt17integral_constantIbLb0EES17_IbLb1EEEEDaS13_S14_EUlS13_E_NS1_11comp_targetILNS1_3genE5ELNS1_11target_archE942ELNS1_3gpuE9ELNS1_3repE0EEENS1_30default_config_static_selectorELNS0_4arch9wavefront6targetE0EEEvT1_ ; -- Begin function _ZN7rocprim17ROCPRIM_400000_NS6detail17trampoline_kernelINS0_14default_configENS1_29reduce_by_key_config_selectorIiiN6thrust23THRUST_200600_302600_NS4plusIiEEEEZZNS1_33reduce_by_key_impl_wrapped_configILNS1_25lookback_scan_determinismE0ES3_S9_NS6_18transform_iteratorI25linear_index_to_row_indexIiENS6_17counting_iteratorIiNS6_11use_defaultESG_SG_EESG_SG_EENS6_6detail15normal_iteratorINS6_10device_ptrIiEEEESN_SN_PmS8_NS6_8equal_toIiEEEE10hipError_tPvRmT2_T3_mT4_T5_T6_T7_T8_P12ihipStream_tbENKUlT_T0_E_clISt17integral_constantIbLb0EES17_IbLb1EEEEDaS13_S14_EUlS13_E_NS1_11comp_targetILNS1_3genE5ELNS1_11target_archE942ELNS1_3gpuE9ELNS1_3repE0EEENS1_30default_config_static_selectorELNS0_4arch9wavefront6targetE0EEEvT1_
	.globl	_ZN7rocprim17ROCPRIM_400000_NS6detail17trampoline_kernelINS0_14default_configENS1_29reduce_by_key_config_selectorIiiN6thrust23THRUST_200600_302600_NS4plusIiEEEEZZNS1_33reduce_by_key_impl_wrapped_configILNS1_25lookback_scan_determinismE0ES3_S9_NS6_18transform_iteratorI25linear_index_to_row_indexIiENS6_17counting_iteratorIiNS6_11use_defaultESG_SG_EESG_SG_EENS6_6detail15normal_iteratorINS6_10device_ptrIiEEEESN_SN_PmS8_NS6_8equal_toIiEEEE10hipError_tPvRmT2_T3_mT4_T5_T6_T7_T8_P12ihipStream_tbENKUlT_T0_E_clISt17integral_constantIbLb0EES17_IbLb1EEEEDaS13_S14_EUlS13_E_NS1_11comp_targetILNS1_3genE5ELNS1_11target_archE942ELNS1_3gpuE9ELNS1_3repE0EEENS1_30default_config_static_selectorELNS0_4arch9wavefront6targetE0EEEvT1_
	.p2align	8
	.type	_ZN7rocprim17ROCPRIM_400000_NS6detail17trampoline_kernelINS0_14default_configENS1_29reduce_by_key_config_selectorIiiN6thrust23THRUST_200600_302600_NS4plusIiEEEEZZNS1_33reduce_by_key_impl_wrapped_configILNS1_25lookback_scan_determinismE0ES3_S9_NS6_18transform_iteratorI25linear_index_to_row_indexIiENS6_17counting_iteratorIiNS6_11use_defaultESG_SG_EESG_SG_EENS6_6detail15normal_iteratorINS6_10device_ptrIiEEEESN_SN_PmS8_NS6_8equal_toIiEEEE10hipError_tPvRmT2_T3_mT4_T5_T6_T7_T8_P12ihipStream_tbENKUlT_T0_E_clISt17integral_constantIbLb0EES17_IbLb1EEEEDaS13_S14_EUlS13_E_NS1_11comp_targetILNS1_3genE5ELNS1_11target_archE942ELNS1_3gpuE9ELNS1_3repE0EEENS1_30default_config_static_selectorELNS0_4arch9wavefront6targetE0EEEvT1_,@function
_ZN7rocprim17ROCPRIM_400000_NS6detail17trampoline_kernelINS0_14default_configENS1_29reduce_by_key_config_selectorIiiN6thrust23THRUST_200600_302600_NS4plusIiEEEEZZNS1_33reduce_by_key_impl_wrapped_configILNS1_25lookback_scan_determinismE0ES3_S9_NS6_18transform_iteratorI25linear_index_to_row_indexIiENS6_17counting_iteratorIiNS6_11use_defaultESG_SG_EESG_SG_EENS6_6detail15normal_iteratorINS6_10device_ptrIiEEEESN_SN_PmS8_NS6_8equal_toIiEEEE10hipError_tPvRmT2_T3_mT4_T5_T6_T7_T8_P12ihipStream_tbENKUlT_T0_E_clISt17integral_constantIbLb0EES17_IbLb1EEEEDaS13_S14_EUlS13_E_NS1_11comp_targetILNS1_3genE5ELNS1_11target_archE942ELNS1_3gpuE9ELNS1_3repE0EEENS1_30default_config_static_selectorELNS0_4arch9wavefront6targetE0EEEvT1_: ; @_ZN7rocprim17ROCPRIM_400000_NS6detail17trampoline_kernelINS0_14default_configENS1_29reduce_by_key_config_selectorIiiN6thrust23THRUST_200600_302600_NS4plusIiEEEEZZNS1_33reduce_by_key_impl_wrapped_configILNS1_25lookback_scan_determinismE0ES3_S9_NS6_18transform_iteratorI25linear_index_to_row_indexIiENS6_17counting_iteratorIiNS6_11use_defaultESG_SG_EESG_SG_EENS6_6detail15normal_iteratorINS6_10device_ptrIiEEEESN_SN_PmS8_NS6_8equal_toIiEEEE10hipError_tPvRmT2_T3_mT4_T5_T6_T7_T8_P12ihipStream_tbENKUlT_T0_E_clISt17integral_constantIbLb0EES17_IbLb1EEEEDaS13_S14_EUlS13_E_NS1_11comp_targetILNS1_3genE5ELNS1_11target_archE942ELNS1_3gpuE9ELNS1_3repE0EEENS1_30default_config_static_selectorELNS0_4arch9wavefront6targetE0EEEvT1_
; %bb.0:
	.section	.rodata,"a",@progbits
	.p2align	6, 0x0
	.amdhsa_kernel _ZN7rocprim17ROCPRIM_400000_NS6detail17trampoline_kernelINS0_14default_configENS1_29reduce_by_key_config_selectorIiiN6thrust23THRUST_200600_302600_NS4plusIiEEEEZZNS1_33reduce_by_key_impl_wrapped_configILNS1_25lookback_scan_determinismE0ES3_S9_NS6_18transform_iteratorI25linear_index_to_row_indexIiENS6_17counting_iteratorIiNS6_11use_defaultESG_SG_EESG_SG_EENS6_6detail15normal_iteratorINS6_10device_ptrIiEEEESN_SN_PmS8_NS6_8equal_toIiEEEE10hipError_tPvRmT2_T3_mT4_T5_T6_T7_T8_P12ihipStream_tbENKUlT_T0_E_clISt17integral_constantIbLb0EES17_IbLb1EEEEDaS13_S14_EUlS13_E_NS1_11comp_targetILNS1_3genE5ELNS1_11target_archE942ELNS1_3gpuE9ELNS1_3repE0EEENS1_30default_config_static_selectorELNS0_4arch9wavefront6targetE0EEEvT1_
		.amdhsa_group_segment_fixed_size 0
		.amdhsa_private_segment_fixed_size 0
		.amdhsa_kernarg_size 120
		.amdhsa_user_sgpr_count 6
		.amdhsa_user_sgpr_private_segment_buffer 1
		.amdhsa_user_sgpr_dispatch_ptr 0
		.amdhsa_user_sgpr_queue_ptr 0
		.amdhsa_user_sgpr_kernarg_segment_ptr 1
		.amdhsa_user_sgpr_dispatch_id 0
		.amdhsa_user_sgpr_flat_scratch_init 0
		.amdhsa_user_sgpr_private_segment_size 0
		.amdhsa_wavefront_size32 1
		.amdhsa_uses_dynamic_stack 0
		.amdhsa_system_sgpr_private_segment_wavefront_offset 0
		.amdhsa_system_sgpr_workgroup_id_x 1
		.amdhsa_system_sgpr_workgroup_id_y 0
		.amdhsa_system_sgpr_workgroup_id_z 0
		.amdhsa_system_sgpr_workgroup_info 0
		.amdhsa_system_vgpr_workitem_id 0
		.amdhsa_next_free_vgpr 1
		.amdhsa_next_free_sgpr 1
		.amdhsa_reserve_vcc 0
		.amdhsa_reserve_flat_scratch 0
		.amdhsa_float_round_mode_32 0
		.amdhsa_float_round_mode_16_64 0
		.amdhsa_float_denorm_mode_32 3
		.amdhsa_float_denorm_mode_16_64 3
		.amdhsa_dx10_clamp 1
		.amdhsa_ieee_mode 1
		.amdhsa_fp16_overflow 0
		.amdhsa_workgroup_processor_mode 1
		.amdhsa_memory_ordered 1
		.amdhsa_forward_progress 1
		.amdhsa_shared_vgpr_count 0
		.amdhsa_exception_fp_ieee_invalid_op 0
		.amdhsa_exception_fp_denorm_src 0
		.amdhsa_exception_fp_ieee_div_zero 0
		.amdhsa_exception_fp_ieee_overflow 0
		.amdhsa_exception_fp_ieee_underflow 0
		.amdhsa_exception_fp_ieee_inexact 0
		.amdhsa_exception_int_div_zero 0
	.end_amdhsa_kernel
	.section	.text._ZN7rocprim17ROCPRIM_400000_NS6detail17trampoline_kernelINS0_14default_configENS1_29reduce_by_key_config_selectorIiiN6thrust23THRUST_200600_302600_NS4plusIiEEEEZZNS1_33reduce_by_key_impl_wrapped_configILNS1_25lookback_scan_determinismE0ES3_S9_NS6_18transform_iteratorI25linear_index_to_row_indexIiENS6_17counting_iteratorIiNS6_11use_defaultESG_SG_EESG_SG_EENS6_6detail15normal_iteratorINS6_10device_ptrIiEEEESN_SN_PmS8_NS6_8equal_toIiEEEE10hipError_tPvRmT2_T3_mT4_T5_T6_T7_T8_P12ihipStream_tbENKUlT_T0_E_clISt17integral_constantIbLb0EES17_IbLb1EEEEDaS13_S14_EUlS13_E_NS1_11comp_targetILNS1_3genE5ELNS1_11target_archE942ELNS1_3gpuE9ELNS1_3repE0EEENS1_30default_config_static_selectorELNS0_4arch9wavefront6targetE0EEEvT1_,"axG",@progbits,_ZN7rocprim17ROCPRIM_400000_NS6detail17trampoline_kernelINS0_14default_configENS1_29reduce_by_key_config_selectorIiiN6thrust23THRUST_200600_302600_NS4plusIiEEEEZZNS1_33reduce_by_key_impl_wrapped_configILNS1_25lookback_scan_determinismE0ES3_S9_NS6_18transform_iteratorI25linear_index_to_row_indexIiENS6_17counting_iteratorIiNS6_11use_defaultESG_SG_EESG_SG_EENS6_6detail15normal_iteratorINS6_10device_ptrIiEEEESN_SN_PmS8_NS6_8equal_toIiEEEE10hipError_tPvRmT2_T3_mT4_T5_T6_T7_T8_P12ihipStream_tbENKUlT_T0_E_clISt17integral_constantIbLb0EES17_IbLb1EEEEDaS13_S14_EUlS13_E_NS1_11comp_targetILNS1_3genE5ELNS1_11target_archE942ELNS1_3gpuE9ELNS1_3repE0EEENS1_30default_config_static_selectorELNS0_4arch9wavefront6targetE0EEEvT1_,comdat
.Lfunc_end42:
	.size	_ZN7rocprim17ROCPRIM_400000_NS6detail17trampoline_kernelINS0_14default_configENS1_29reduce_by_key_config_selectorIiiN6thrust23THRUST_200600_302600_NS4plusIiEEEEZZNS1_33reduce_by_key_impl_wrapped_configILNS1_25lookback_scan_determinismE0ES3_S9_NS6_18transform_iteratorI25linear_index_to_row_indexIiENS6_17counting_iteratorIiNS6_11use_defaultESG_SG_EESG_SG_EENS6_6detail15normal_iteratorINS6_10device_ptrIiEEEESN_SN_PmS8_NS6_8equal_toIiEEEE10hipError_tPvRmT2_T3_mT4_T5_T6_T7_T8_P12ihipStream_tbENKUlT_T0_E_clISt17integral_constantIbLb0EES17_IbLb1EEEEDaS13_S14_EUlS13_E_NS1_11comp_targetILNS1_3genE5ELNS1_11target_archE942ELNS1_3gpuE9ELNS1_3repE0EEENS1_30default_config_static_selectorELNS0_4arch9wavefront6targetE0EEEvT1_, .Lfunc_end42-_ZN7rocprim17ROCPRIM_400000_NS6detail17trampoline_kernelINS0_14default_configENS1_29reduce_by_key_config_selectorIiiN6thrust23THRUST_200600_302600_NS4plusIiEEEEZZNS1_33reduce_by_key_impl_wrapped_configILNS1_25lookback_scan_determinismE0ES3_S9_NS6_18transform_iteratorI25linear_index_to_row_indexIiENS6_17counting_iteratorIiNS6_11use_defaultESG_SG_EESG_SG_EENS6_6detail15normal_iteratorINS6_10device_ptrIiEEEESN_SN_PmS8_NS6_8equal_toIiEEEE10hipError_tPvRmT2_T3_mT4_T5_T6_T7_T8_P12ihipStream_tbENKUlT_T0_E_clISt17integral_constantIbLb0EES17_IbLb1EEEEDaS13_S14_EUlS13_E_NS1_11comp_targetILNS1_3genE5ELNS1_11target_archE942ELNS1_3gpuE9ELNS1_3repE0EEENS1_30default_config_static_selectorELNS0_4arch9wavefront6targetE0EEEvT1_
                                        ; -- End function
	.set _ZN7rocprim17ROCPRIM_400000_NS6detail17trampoline_kernelINS0_14default_configENS1_29reduce_by_key_config_selectorIiiN6thrust23THRUST_200600_302600_NS4plusIiEEEEZZNS1_33reduce_by_key_impl_wrapped_configILNS1_25lookback_scan_determinismE0ES3_S9_NS6_18transform_iteratorI25linear_index_to_row_indexIiENS6_17counting_iteratorIiNS6_11use_defaultESG_SG_EESG_SG_EENS6_6detail15normal_iteratorINS6_10device_ptrIiEEEESN_SN_PmS8_NS6_8equal_toIiEEEE10hipError_tPvRmT2_T3_mT4_T5_T6_T7_T8_P12ihipStream_tbENKUlT_T0_E_clISt17integral_constantIbLb0EES17_IbLb1EEEEDaS13_S14_EUlS13_E_NS1_11comp_targetILNS1_3genE5ELNS1_11target_archE942ELNS1_3gpuE9ELNS1_3repE0EEENS1_30default_config_static_selectorELNS0_4arch9wavefront6targetE0EEEvT1_.num_vgpr, 0
	.set _ZN7rocprim17ROCPRIM_400000_NS6detail17trampoline_kernelINS0_14default_configENS1_29reduce_by_key_config_selectorIiiN6thrust23THRUST_200600_302600_NS4plusIiEEEEZZNS1_33reduce_by_key_impl_wrapped_configILNS1_25lookback_scan_determinismE0ES3_S9_NS6_18transform_iteratorI25linear_index_to_row_indexIiENS6_17counting_iteratorIiNS6_11use_defaultESG_SG_EESG_SG_EENS6_6detail15normal_iteratorINS6_10device_ptrIiEEEESN_SN_PmS8_NS6_8equal_toIiEEEE10hipError_tPvRmT2_T3_mT4_T5_T6_T7_T8_P12ihipStream_tbENKUlT_T0_E_clISt17integral_constantIbLb0EES17_IbLb1EEEEDaS13_S14_EUlS13_E_NS1_11comp_targetILNS1_3genE5ELNS1_11target_archE942ELNS1_3gpuE9ELNS1_3repE0EEENS1_30default_config_static_selectorELNS0_4arch9wavefront6targetE0EEEvT1_.num_agpr, 0
	.set _ZN7rocprim17ROCPRIM_400000_NS6detail17trampoline_kernelINS0_14default_configENS1_29reduce_by_key_config_selectorIiiN6thrust23THRUST_200600_302600_NS4plusIiEEEEZZNS1_33reduce_by_key_impl_wrapped_configILNS1_25lookback_scan_determinismE0ES3_S9_NS6_18transform_iteratorI25linear_index_to_row_indexIiENS6_17counting_iteratorIiNS6_11use_defaultESG_SG_EESG_SG_EENS6_6detail15normal_iteratorINS6_10device_ptrIiEEEESN_SN_PmS8_NS6_8equal_toIiEEEE10hipError_tPvRmT2_T3_mT4_T5_T6_T7_T8_P12ihipStream_tbENKUlT_T0_E_clISt17integral_constantIbLb0EES17_IbLb1EEEEDaS13_S14_EUlS13_E_NS1_11comp_targetILNS1_3genE5ELNS1_11target_archE942ELNS1_3gpuE9ELNS1_3repE0EEENS1_30default_config_static_selectorELNS0_4arch9wavefront6targetE0EEEvT1_.numbered_sgpr, 0
	.set _ZN7rocprim17ROCPRIM_400000_NS6detail17trampoline_kernelINS0_14default_configENS1_29reduce_by_key_config_selectorIiiN6thrust23THRUST_200600_302600_NS4plusIiEEEEZZNS1_33reduce_by_key_impl_wrapped_configILNS1_25lookback_scan_determinismE0ES3_S9_NS6_18transform_iteratorI25linear_index_to_row_indexIiENS6_17counting_iteratorIiNS6_11use_defaultESG_SG_EESG_SG_EENS6_6detail15normal_iteratorINS6_10device_ptrIiEEEESN_SN_PmS8_NS6_8equal_toIiEEEE10hipError_tPvRmT2_T3_mT4_T5_T6_T7_T8_P12ihipStream_tbENKUlT_T0_E_clISt17integral_constantIbLb0EES17_IbLb1EEEEDaS13_S14_EUlS13_E_NS1_11comp_targetILNS1_3genE5ELNS1_11target_archE942ELNS1_3gpuE9ELNS1_3repE0EEENS1_30default_config_static_selectorELNS0_4arch9wavefront6targetE0EEEvT1_.num_named_barrier, 0
	.set _ZN7rocprim17ROCPRIM_400000_NS6detail17trampoline_kernelINS0_14default_configENS1_29reduce_by_key_config_selectorIiiN6thrust23THRUST_200600_302600_NS4plusIiEEEEZZNS1_33reduce_by_key_impl_wrapped_configILNS1_25lookback_scan_determinismE0ES3_S9_NS6_18transform_iteratorI25linear_index_to_row_indexIiENS6_17counting_iteratorIiNS6_11use_defaultESG_SG_EESG_SG_EENS6_6detail15normal_iteratorINS6_10device_ptrIiEEEESN_SN_PmS8_NS6_8equal_toIiEEEE10hipError_tPvRmT2_T3_mT4_T5_T6_T7_T8_P12ihipStream_tbENKUlT_T0_E_clISt17integral_constantIbLb0EES17_IbLb1EEEEDaS13_S14_EUlS13_E_NS1_11comp_targetILNS1_3genE5ELNS1_11target_archE942ELNS1_3gpuE9ELNS1_3repE0EEENS1_30default_config_static_selectorELNS0_4arch9wavefront6targetE0EEEvT1_.private_seg_size, 0
	.set _ZN7rocprim17ROCPRIM_400000_NS6detail17trampoline_kernelINS0_14default_configENS1_29reduce_by_key_config_selectorIiiN6thrust23THRUST_200600_302600_NS4plusIiEEEEZZNS1_33reduce_by_key_impl_wrapped_configILNS1_25lookback_scan_determinismE0ES3_S9_NS6_18transform_iteratorI25linear_index_to_row_indexIiENS6_17counting_iteratorIiNS6_11use_defaultESG_SG_EESG_SG_EENS6_6detail15normal_iteratorINS6_10device_ptrIiEEEESN_SN_PmS8_NS6_8equal_toIiEEEE10hipError_tPvRmT2_T3_mT4_T5_T6_T7_T8_P12ihipStream_tbENKUlT_T0_E_clISt17integral_constantIbLb0EES17_IbLb1EEEEDaS13_S14_EUlS13_E_NS1_11comp_targetILNS1_3genE5ELNS1_11target_archE942ELNS1_3gpuE9ELNS1_3repE0EEENS1_30default_config_static_selectorELNS0_4arch9wavefront6targetE0EEEvT1_.uses_vcc, 0
	.set _ZN7rocprim17ROCPRIM_400000_NS6detail17trampoline_kernelINS0_14default_configENS1_29reduce_by_key_config_selectorIiiN6thrust23THRUST_200600_302600_NS4plusIiEEEEZZNS1_33reduce_by_key_impl_wrapped_configILNS1_25lookback_scan_determinismE0ES3_S9_NS6_18transform_iteratorI25linear_index_to_row_indexIiENS6_17counting_iteratorIiNS6_11use_defaultESG_SG_EESG_SG_EENS6_6detail15normal_iteratorINS6_10device_ptrIiEEEESN_SN_PmS8_NS6_8equal_toIiEEEE10hipError_tPvRmT2_T3_mT4_T5_T6_T7_T8_P12ihipStream_tbENKUlT_T0_E_clISt17integral_constantIbLb0EES17_IbLb1EEEEDaS13_S14_EUlS13_E_NS1_11comp_targetILNS1_3genE5ELNS1_11target_archE942ELNS1_3gpuE9ELNS1_3repE0EEENS1_30default_config_static_selectorELNS0_4arch9wavefront6targetE0EEEvT1_.uses_flat_scratch, 0
	.set _ZN7rocprim17ROCPRIM_400000_NS6detail17trampoline_kernelINS0_14default_configENS1_29reduce_by_key_config_selectorIiiN6thrust23THRUST_200600_302600_NS4plusIiEEEEZZNS1_33reduce_by_key_impl_wrapped_configILNS1_25lookback_scan_determinismE0ES3_S9_NS6_18transform_iteratorI25linear_index_to_row_indexIiENS6_17counting_iteratorIiNS6_11use_defaultESG_SG_EESG_SG_EENS6_6detail15normal_iteratorINS6_10device_ptrIiEEEESN_SN_PmS8_NS6_8equal_toIiEEEE10hipError_tPvRmT2_T3_mT4_T5_T6_T7_T8_P12ihipStream_tbENKUlT_T0_E_clISt17integral_constantIbLb0EES17_IbLb1EEEEDaS13_S14_EUlS13_E_NS1_11comp_targetILNS1_3genE5ELNS1_11target_archE942ELNS1_3gpuE9ELNS1_3repE0EEENS1_30default_config_static_selectorELNS0_4arch9wavefront6targetE0EEEvT1_.has_dyn_sized_stack, 0
	.set _ZN7rocprim17ROCPRIM_400000_NS6detail17trampoline_kernelINS0_14default_configENS1_29reduce_by_key_config_selectorIiiN6thrust23THRUST_200600_302600_NS4plusIiEEEEZZNS1_33reduce_by_key_impl_wrapped_configILNS1_25lookback_scan_determinismE0ES3_S9_NS6_18transform_iteratorI25linear_index_to_row_indexIiENS6_17counting_iteratorIiNS6_11use_defaultESG_SG_EESG_SG_EENS6_6detail15normal_iteratorINS6_10device_ptrIiEEEESN_SN_PmS8_NS6_8equal_toIiEEEE10hipError_tPvRmT2_T3_mT4_T5_T6_T7_T8_P12ihipStream_tbENKUlT_T0_E_clISt17integral_constantIbLb0EES17_IbLb1EEEEDaS13_S14_EUlS13_E_NS1_11comp_targetILNS1_3genE5ELNS1_11target_archE942ELNS1_3gpuE9ELNS1_3repE0EEENS1_30default_config_static_selectorELNS0_4arch9wavefront6targetE0EEEvT1_.has_recursion, 0
	.set _ZN7rocprim17ROCPRIM_400000_NS6detail17trampoline_kernelINS0_14default_configENS1_29reduce_by_key_config_selectorIiiN6thrust23THRUST_200600_302600_NS4plusIiEEEEZZNS1_33reduce_by_key_impl_wrapped_configILNS1_25lookback_scan_determinismE0ES3_S9_NS6_18transform_iteratorI25linear_index_to_row_indexIiENS6_17counting_iteratorIiNS6_11use_defaultESG_SG_EESG_SG_EENS6_6detail15normal_iteratorINS6_10device_ptrIiEEEESN_SN_PmS8_NS6_8equal_toIiEEEE10hipError_tPvRmT2_T3_mT4_T5_T6_T7_T8_P12ihipStream_tbENKUlT_T0_E_clISt17integral_constantIbLb0EES17_IbLb1EEEEDaS13_S14_EUlS13_E_NS1_11comp_targetILNS1_3genE5ELNS1_11target_archE942ELNS1_3gpuE9ELNS1_3repE0EEENS1_30default_config_static_selectorELNS0_4arch9wavefront6targetE0EEEvT1_.has_indirect_call, 0
	.section	.AMDGPU.csdata,"",@progbits
; Kernel info:
; codeLenInByte = 0
; TotalNumSgprs: 0
; NumVgprs: 0
; ScratchSize: 0
; MemoryBound: 0
; FloatMode: 240
; IeeeMode: 1
; LDSByteSize: 0 bytes/workgroup (compile time only)
; SGPRBlocks: 0
; VGPRBlocks: 0
; NumSGPRsForWavesPerEU: 1
; NumVGPRsForWavesPerEU: 1
; Occupancy: 16
; WaveLimiterHint : 0
; COMPUTE_PGM_RSRC2:SCRATCH_EN: 0
; COMPUTE_PGM_RSRC2:USER_SGPR: 6
; COMPUTE_PGM_RSRC2:TRAP_HANDLER: 0
; COMPUTE_PGM_RSRC2:TGID_X_EN: 1
; COMPUTE_PGM_RSRC2:TGID_Y_EN: 0
; COMPUTE_PGM_RSRC2:TGID_Z_EN: 0
; COMPUTE_PGM_RSRC2:TIDIG_COMP_CNT: 0
	.section	.text._ZN7rocprim17ROCPRIM_400000_NS6detail17trampoline_kernelINS0_14default_configENS1_29reduce_by_key_config_selectorIiiN6thrust23THRUST_200600_302600_NS4plusIiEEEEZZNS1_33reduce_by_key_impl_wrapped_configILNS1_25lookback_scan_determinismE0ES3_S9_NS6_18transform_iteratorI25linear_index_to_row_indexIiENS6_17counting_iteratorIiNS6_11use_defaultESG_SG_EESG_SG_EENS6_6detail15normal_iteratorINS6_10device_ptrIiEEEESN_SN_PmS8_NS6_8equal_toIiEEEE10hipError_tPvRmT2_T3_mT4_T5_T6_T7_T8_P12ihipStream_tbENKUlT_T0_E_clISt17integral_constantIbLb0EES17_IbLb1EEEEDaS13_S14_EUlS13_E_NS1_11comp_targetILNS1_3genE4ELNS1_11target_archE910ELNS1_3gpuE8ELNS1_3repE0EEENS1_30default_config_static_selectorELNS0_4arch9wavefront6targetE0EEEvT1_,"axG",@progbits,_ZN7rocprim17ROCPRIM_400000_NS6detail17trampoline_kernelINS0_14default_configENS1_29reduce_by_key_config_selectorIiiN6thrust23THRUST_200600_302600_NS4plusIiEEEEZZNS1_33reduce_by_key_impl_wrapped_configILNS1_25lookback_scan_determinismE0ES3_S9_NS6_18transform_iteratorI25linear_index_to_row_indexIiENS6_17counting_iteratorIiNS6_11use_defaultESG_SG_EESG_SG_EENS6_6detail15normal_iteratorINS6_10device_ptrIiEEEESN_SN_PmS8_NS6_8equal_toIiEEEE10hipError_tPvRmT2_T3_mT4_T5_T6_T7_T8_P12ihipStream_tbENKUlT_T0_E_clISt17integral_constantIbLb0EES17_IbLb1EEEEDaS13_S14_EUlS13_E_NS1_11comp_targetILNS1_3genE4ELNS1_11target_archE910ELNS1_3gpuE8ELNS1_3repE0EEENS1_30default_config_static_selectorELNS0_4arch9wavefront6targetE0EEEvT1_,comdat
	.protected	_ZN7rocprim17ROCPRIM_400000_NS6detail17trampoline_kernelINS0_14default_configENS1_29reduce_by_key_config_selectorIiiN6thrust23THRUST_200600_302600_NS4plusIiEEEEZZNS1_33reduce_by_key_impl_wrapped_configILNS1_25lookback_scan_determinismE0ES3_S9_NS6_18transform_iteratorI25linear_index_to_row_indexIiENS6_17counting_iteratorIiNS6_11use_defaultESG_SG_EESG_SG_EENS6_6detail15normal_iteratorINS6_10device_ptrIiEEEESN_SN_PmS8_NS6_8equal_toIiEEEE10hipError_tPvRmT2_T3_mT4_T5_T6_T7_T8_P12ihipStream_tbENKUlT_T0_E_clISt17integral_constantIbLb0EES17_IbLb1EEEEDaS13_S14_EUlS13_E_NS1_11comp_targetILNS1_3genE4ELNS1_11target_archE910ELNS1_3gpuE8ELNS1_3repE0EEENS1_30default_config_static_selectorELNS0_4arch9wavefront6targetE0EEEvT1_ ; -- Begin function _ZN7rocprim17ROCPRIM_400000_NS6detail17trampoline_kernelINS0_14default_configENS1_29reduce_by_key_config_selectorIiiN6thrust23THRUST_200600_302600_NS4plusIiEEEEZZNS1_33reduce_by_key_impl_wrapped_configILNS1_25lookback_scan_determinismE0ES3_S9_NS6_18transform_iteratorI25linear_index_to_row_indexIiENS6_17counting_iteratorIiNS6_11use_defaultESG_SG_EESG_SG_EENS6_6detail15normal_iteratorINS6_10device_ptrIiEEEESN_SN_PmS8_NS6_8equal_toIiEEEE10hipError_tPvRmT2_T3_mT4_T5_T6_T7_T8_P12ihipStream_tbENKUlT_T0_E_clISt17integral_constantIbLb0EES17_IbLb1EEEEDaS13_S14_EUlS13_E_NS1_11comp_targetILNS1_3genE4ELNS1_11target_archE910ELNS1_3gpuE8ELNS1_3repE0EEENS1_30default_config_static_selectorELNS0_4arch9wavefront6targetE0EEEvT1_
	.globl	_ZN7rocprim17ROCPRIM_400000_NS6detail17trampoline_kernelINS0_14default_configENS1_29reduce_by_key_config_selectorIiiN6thrust23THRUST_200600_302600_NS4plusIiEEEEZZNS1_33reduce_by_key_impl_wrapped_configILNS1_25lookback_scan_determinismE0ES3_S9_NS6_18transform_iteratorI25linear_index_to_row_indexIiENS6_17counting_iteratorIiNS6_11use_defaultESG_SG_EESG_SG_EENS6_6detail15normal_iteratorINS6_10device_ptrIiEEEESN_SN_PmS8_NS6_8equal_toIiEEEE10hipError_tPvRmT2_T3_mT4_T5_T6_T7_T8_P12ihipStream_tbENKUlT_T0_E_clISt17integral_constantIbLb0EES17_IbLb1EEEEDaS13_S14_EUlS13_E_NS1_11comp_targetILNS1_3genE4ELNS1_11target_archE910ELNS1_3gpuE8ELNS1_3repE0EEENS1_30default_config_static_selectorELNS0_4arch9wavefront6targetE0EEEvT1_
	.p2align	8
	.type	_ZN7rocprim17ROCPRIM_400000_NS6detail17trampoline_kernelINS0_14default_configENS1_29reduce_by_key_config_selectorIiiN6thrust23THRUST_200600_302600_NS4plusIiEEEEZZNS1_33reduce_by_key_impl_wrapped_configILNS1_25lookback_scan_determinismE0ES3_S9_NS6_18transform_iteratorI25linear_index_to_row_indexIiENS6_17counting_iteratorIiNS6_11use_defaultESG_SG_EESG_SG_EENS6_6detail15normal_iteratorINS6_10device_ptrIiEEEESN_SN_PmS8_NS6_8equal_toIiEEEE10hipError_tPvRmT2_T3_mT4_T5_T6_T7_T8_P12ihipStream_tbENKUlT_T0_E_clISt17integral_constantIbLb0EES17_IbLb1EEEEDaS13_S14_EUlS13_E_NS1_11comp_targetILNS1_3genE4ELNS1_11target_archE910ELNS1_3gpuE8ELNS1_3repE0EEENS1_30default_config_static_selectorELNS0_4arch9wavefront6targetE0EEEvT1_,@function
_ZN7rocprim17ROCPRIM_400000_NS6detail17trampoline_kernelINS0_14default_configENS1_29reduce_by_key_config_selectorIiiN6thrust23THRUST_200600_302600_NS4plusIiEEEEZZNS1_33reduce_by_key_impl_wrapped_configILNS1_25lookback_scan_determinismE0ES3_S9_NS6_18transform_iteratorI25linear_index_to_row_indexIiENS6_17counting_iteratorIiNS6_11use_defaultESG_SG_EESG_SG_EENS6_6detail15normal_iteratorINS6_10device_ptrIiEEEESN_SN_PmS8_NS6_8equal_toIiEEEE10hipError_tPvRmT2_T3_mT4_T5_T6_T7_T8_P12ihipStream_tbENKUlT_T0_E_clISt17integral_constantIbLb0EES17_IbLb1EEEEDaS13_S14_EUlS13_E_NS1_11comp_targetILNS1_3genE4ELNS1_11target_archE910ELNS1_3gpuE8ELNS1_3repE0EEENS1_30default_config_static_selectorELNS0_4arch9wavefront6targetE0EEEvT1_: ; @_ZN7rocprim17ROCPRIM_400000_NS6detail17trampoline_kernelINS0_14default_configENS1_29reduce_by_key_config_selectorIiiN6thrust23THRUST_200600_302600_NS4plusIiEEEEZZNS1_33reduce_by_key_impl_wrapped_configILNS1_25lookback_scan_determinismE0ES3_S9_NS6_18transform_iteratorI25linear_index_to_row_indexIiENS6_17counting_iteratorIiNS6_11use_defaultESG_SG_EESG_SG_EENS6_6detail15normal_iteratorINS6_10device_ptrIiEEEESN_SN_PmS8_NS6_8equal_toIiEEEE10hipError_tPvRmT2_T3_mT4_T5_T6_T7_T8_P12ihipStream_tbENKUlT_T0_E_clISt17integral_constantIbLb0EES17_IbLb1EEEEDaS13_S14_EUlS13_E_NS1_11comp_targetILNS1_3genE4ELNS1_11target_archE910ELNS1_3gpuE8ELNS1_3repE0EEENS1_30default_config_static_selectorELNS0_4arch9wavefront6targetE0EEEvT1_
; %bb.0:
	.section	.rodata,"a",@progbits
	.p2align	6, 0x0
	.amdhsa_kernel _ZN7rocprim17ROCPRIM_400000_NS6detail17trampoline_kernelINS0_14default_configENS1_29reduce_by_key_config_selectorIiiN6thrust23THRUST_200600_302600_NS4plusIiEEEEZZNS1_33reduce_by_key_impl_wrapped_configILNS1_25lookback_scan_determinismE0ES3_S9_NS6_18transform_iteratorI25linear_index_to_row_indexIiENS6_17counting_iteratorIiNS6_11use_defaultESG_SG_EESG_SG_EENS6_6detail15normal_iteratorINS6_10device_ptrIiEEEESN_SN_PmS8_NS6_8equal_toIiEEEE10hipError_tPvRmT2_T3_mT4_T5_T6_T7_T8_P12ihipStream_tbENKUlT_T0_E_clISt17integral_constantIbLb0EES17_IbLb1EEEEDaS13_S14_EUlS13_E_NS1_11comp_targetILNS1_3genE4ELNS1_11target_archE910ELNS1_3gpuE8ELNS1_3repE0EEENS1_30default_config_static_selectorELNS0_4arch9wavefront6targetE0EEEvT1_
		.amdhsa_group_segment_fixed_size 0
		.amdhsa_private_segment_fixed_size 0
		.amdhsa_kernarg_size 120
		.amdhsa_user_sgpr_count 6
		.amdhsa_user_sgpr_private_segment_buffer 1
		.amdhsa_user_sgpr_dispatch_ptr 0
		.amdhsa_user_sgpr_queue_ptr 0
		.amdhsa_user_sgpr_kernarg_segment_ptr 1
		.amdhsa_user_sgpr_dispatch_id 0
		.amdhsa_user_sgpr_flat_scratch_init 0
		.amdhsa_user_sgpr_private_segment_size 0
		.amdhsa_wavefront_size32 1
		.amdhsa_uses_dynamic_stack 0
		.amdhsa_system_sgpr_private_segment_wavefront_offset 0
		.amdhsa_system_sgpr_workgroup_id_x 1
		.amdhsa_system_sgpr_workgroup_id_y 0
		.amdhsa_system_sgpr_workgroup_id_z 0
		.amdhsa_system_sgpr_workgroup_info 0
		.amdhsa_system_vgpr_workitem_id 0
		.amdhsa_next_free_vgpr 1
		.amdhsa_next_free_sgpr 1
		.amdhsa_reserve_vcc 0
		.amdhsa_reserve_flat_scratch 0
		.amdhsa_float_round_mode_32 0
		.amdhsa_float_round_mode_16_64 0
		.amdhsa_float_denorm_mode_32 3
		.amdhsa_float_denorm_mode_16_64 3
		.amdhsa_dx10_clamp 1
		.amdhsa_ieee_mode 1
		.amdhsa_fp16_overflow 0
		.amdhsa_workgroup_processor_mode 1
		.amdhsa_memory_ordered 1
		.amdhsa_forward_progress 1
		.amdhsa_shared_vgpr_count 0
		.amdhsa_exception_fp_ieee_invalid_op 0
		.amdhsa_exception_fp_denorm_src 0
		.amdhsa_exception_fp_ieee_div_zero 0
		.amdhsa_exception_fp_ieee_overflow 0
		.amdhsa_exception_fp_ieee_underflow 0
		.amdhsa_exception_fp_ieee_inexact 0
		.amdhsa_exception_int_div_zero 0
	.end_amdhsa_kernel
	.section	.text._ZN7rocprim17ROCPRIM_400000_NS6detail17trampoline_kernelINS0_14default_configENS1_29reduce_by_key_config_selectorIiiN6thrust23THRUST_200600_302600_NS4plusIiEEEEZZNS1_33reduce_by_key_impl_wrapped_configILNS1_25lookback_scan_determinismE0ES3_S9_NS6_18transform_iteratorI25linear_index_to_row_indexIiENS6_17counting_iteratorIiNS6_11use_defaultESG_SG_EESG_SG_EENS6_6detail15normal_iteratorINS6_10device_ptrIiEEEESN_SN_PmS8_NS6_8equal_toIiEEEE10hipError_tPvRmT2_T3_mT4_T5_T6_T7_T8_P12ihipStream_tbENKUlT_T0_E_clISt17integral_constantIbLb0EES17_IbLb1EEEEDaS13_S14_EUlS13_E_NS1_11comp_targetILNS1_3genE4ELNS1_11target_archE910ELNS1_3gpuE8ELNS1_3repE0EEENS1_30default_config_static_selectorELNS0_4arch9wavefront6targetE0EEEvT1_,"axG",@progbits,_ZN7rocprim17ROCPRIM_400000_NS6detail17trampoline_kernelINS0_14default_configENS1_29reduce_by_key_config_selectorIiiN6thrust23THRUST_200600_302600_NS4plusIiEEEEZZNS1_33reduce_by_key_impl_wrapped_configILNS1_25lookback_scan_determinismE0ES3_S9_NS6_18transform_iteratorI25linear_index_to_row_indexIiENS6_17counting_iteratorIiNS6_11use_defaultESG_SG_EESG_SG_EENS6_6detail15normal_iteratorINS6_10device_ptrIiEEEESN_SN_PmS8_NS6_8equal_toIiEEEE10hipError_tPvRmT2_T3_mT4_T5_T6_T7_T8_P12ihipStream_tbENKUlT_T0_E_clISt17integral_constantIbLb0EES17_IbLb1EEEEDaS13_S14_EUlS13_E_NS1_11comp_targetILNS1_3genE4ELNS1_11target_archE910ELNS1_3gpuE8ELNS1_3repE0EEENS1_30default_config_static_selectorELNS0_4arch9wavefront6targetE0EEEvT1_,comdat
.Lfunc_end43:
	.size	_ZN7rocprim17ROCPRIM_400000_NS6detail17trampoline_kernelINS0_14default_configENS1_29reduce_by_key_config_selectorIiiN6thrust23THRUST_200600_302600_NS4plusIiEEEEZZNS1_33reduce_by_key_impl_wrapped_configILNS1_25lookback_scan_determinismE0ES3_S9_NS6_18transform_iteratorI25linear_index_to_row_indexIiENS6_17counting_iteratorIiNS6_11use_defaultESG_SG_EESG_SG_EENS6_6detail15normal_iteratorINS6_10device_ptrIiEEEESN_SN_PmS8_NS6_8equal_toIiEEEE10hipError_tPvRmT2_T3_mT4_T5_T6_T7_T8_P12ihipStream_tbENKUlT_T0_E_clISt17integral_constantIbLb0EES17_IbLb1EEEEDaS13_S14_EUlS13_E_NS1_11comp_targetILNS1_3genE4ELNS1_11target_archE910ELNS1_3gpuE8ELNS1_3repE0EEENS1_30default_config_static_selectorELNS0_4arch9wavefront6targetE0EEEvT1_, .Lfunc_end43-_ZN7rocprim17ROCPRIM_400000_NS6detail17trampoline_kernelINS0_14default_configENS1_29reduce_by_key_config_selectorIiiN6thrust23THRUST_200600_302600_NS4plusIiEEEEZZNS1_33reduce_by_key_impl_wrapped_configILNS1_25lookback_scan_determinismE0ES3_S9_NS6_18transform_iteratorI25linear_index_to_row_indexIiENS6_17counting_iteratorIiNS6_11use_defaultESG_SG_EESG_SG_EENS6_6detail15normal_iteratorINS6_10device_ptrIiEEEESN_SN_PmS8_NS6_8equal_toIiEEEE10hipError_tPvRmT2_T3_mT4_T5_T6_T7_T8_P12ihipStream_tbENKUlT_T0_E_clISt17integral_constantIbLb0EES17_IbLb1EEEEDaS13_S14_EUlS13_E_NS1_11comp_targetILNS1_3genE4ELNS1_11target_archE910ELNS1_3gpuE8ELNS1_3repE0EEENS1_30default_config_static_selectorELNS0_4arch9wavefront6targetE0EEEvT1_
                                        ; -- End function
	.set _ZN7rocprim17ROCPRIM_400000_NS6detail17trampoline_kernelINS0_14default_configENS1_29reduce_by_key_config_selectorIiiN6thrust23THRUST_200600_302600_NS4plusIiEEEEZZNS1_33reduce_by_key_impl_wrapped_configILNS1_25lookback_scan_determinismE0ES3_S9_NS6_18transform_iteratorI25linear_index_to_row_indexIiENS6_17counting_iteratorIiNS6_11use_defaultESG_SG_EESG_SG_EENS6_6detail15normal_iteratorINS6_10device_ptrIiEEEESN_SN_PmS8_NS6_8equal_toIiEEEE10hipError_tPvRmT2_T3_mT4_T5_T6_T7_T8_P12ihipStream_tbENKUlT_T0_E_clISt17integral_constantIbLb0EES17_IbLb1EEEEDaS13_S14_EUlS13_E_NS1_11comp_targetILNS1_3genE4ELNS1_11target_archE910ELNS1_3gpuE8ELNS1_3repE0EEENS1_30default_config_static_selectorELNS0_4arch9wavefront6targetE0EEEvT1_.num_vgpr, 0
	.set _ZN7rocprim17ROCPRIM_400000_NS6detail17trampoline_kernelINS0_14default_configENS1_29reduce_by_key_config_selectorIiiN6thrust23THRUST_200600_302600_NS4plusIiEEEEZZNS1_33reduce_by_key_impl_wrapped_configILNS1_25lookback_scan_determinismE0ES3_S9_NS6_18transform_iteratorI25linear_index_to_row_indexIiENS6_17counting_iteratorIiNS6_11use_defaultESG_SG_EESG_SG_EENS6_6detail15normal_iteratorINS6_10device_ptrIiEEEESN_SN_PmS8_NS6_8equal_toIiEEEE10hipError_tPvRmT2_T3_mT4_T5_T6_T7_T8_P12ihipStream_tbENKUlT_T0_E_clISt17integral_constantIbLb0EES17_IbLb1EEEEDaS13_S14_EUlS13_E_NS1_11comp_targetILNS1_3genE4ELNS1_11target_archE910ELNS1_3gpuE8ELNS1_3repE0EEENS1_30default_config_static_selectorELNS0_4arch9wavefront6targetE0EEEvT1_.num_agpr, 0
	.set _ZN7rocprim17ROCPRIM_400000_NS6detail17trampoline_kernelINS0_14default_configENS1_29reduce_by_key_config_selectorIiiN6thrust23THRUST_200600_302600_NS4plusIiEEEEZZNS1_33reduce_by_key_impl_wrapped_configILNS1_25lookback_scan_determinismE0ES3_S9_NS6_18transform_iteratorI25linear_index_to_row_indexIiENS6_17counting_iteratorIiNS6_11use_defaultESG_SG_EESG_SG_EENS6_6detail15normal_iteratorINS6_10device_ptrIiEEEESN_SN_PmS8_NS6_8equal_toIiEEEE10hipError_tPvRmT2_T3_mT4_T5_T6_T7_T8_P12ihipStream_tbENKUlT_T0_E_clISt17integral_constantIbLb0EES17_IbLb1EEEEDaS13_S14_EUlS13_E_NS1_11comp_targetILNS1_3genE4ELNS1_11target_archE910ELNS1_3gpuE8ELNS1_3repE0EEENS1_30default_config_static_selectorELNS0_4arch9wavefront6targetE0EEEvT1_.numbered_sgpr, 0
	.set _ZN7rocprim17ROCPRIM_400000_NS6detail17trampoline_kernelINS0_14default_configENS1_29reduce_by_key_config_selectorIiiN6thrust23THRUST_200600_302600_NS4plusIiEEEEZZNS1_33reduce_by_key_impl_wrapped_configILNS1_25lookback_scan_determinismE0ES3_S9_NS6_18transform_iteratorI25linear_index_to_row_indexIiENS6_17counting_iteratorIiNS6_11use_defaultESG_SG_EESG_SG_EENS6_6detail15normal_iteratorINS6_10device_ptrIiEEEESN_SN_PmS8_NS6_8equal_toIiEEEE10hipError_tPvRmT2_T3_mT4_T5_T6_T7_T8_P12ihipStream_tbENKUlT_T0_E_clISt17integral_constantIbLb0EES17_IbLb1EEEEDaS13_S14_EUlS13_E_NS1_11comp_targetILNS1_3genE4ELNS1_11target_archE910ELNS1_3gpuE8ELNS1_3repE0EEENS1_30default_config_static_selectorELNS0_4arch9wavefront6targetE0EEEvT1_.num_named_barrier, 0
	.set _ZN7rocprim17ROCPRIM_400000_NS6detail17trampoline_kernelINS0_14default_configENS1_29reduce_by_key_config_selectorIiiN6thrust23THRUST_200600_302600_NS4plusIiEEEEZZNS1_33reduce_by_key_impl_wrapped_configILNS1_25lookback_scan_determinismE0ES3_S9_NS6_18transform_iteratorI25linear_index_to_row_indexIiENS6_17counting_iteratorIiNS6_11use_defaultESG_SG_EESG_SG_EENS6_6detail15normal_iteratorINS6_10device_ptrIiEEEESN_SN_PmS8_NS6_8equal_toIiEEEE10hipError_tPvRmT2_T3_mT4_T5_T6_T7_T8_P12ihipStream_tbENKUlT_T0_E_clISt17integral_constantIbLb0EES17_IbLb1EEEEDaS13_S14_EUlS13_E_NS1_11comp_targetILNS1_3genE4ELNS1_11target_archE910ELNS1_3gpuE8ELNS1_3repE0EEENS1_30default_config_static_selectorELNS0_4arch9wavefront6targetE0EEEvT1_.private_seg_size, 0
	.set _ZN7rocprim17ROCPRIM_400000_NS6detail17trampoline_kernelINS0_14default_configENS1_29reduce_by_key_config_selectorIiiN6thrust23THRUST_200600_302600_NS4plusIiEEEEZZNS1_33reduce_by_key_impl_wrapped_configILNS1_25lookback_scan_determinismE0ES3_S9_NS6_18transform_iteratorI25linear_index_to_row_indexIiENS6_17counting_iteratorIiNS6_11use_defaultESG_SG_EESG_SG_EENS6_6detail15normal_iteratorINS6_10device_ptrIiEEEESN_SN_PmS8_NS6_8equal_toIiEEEE10hipError_tPvRmT2_T3_mT4_T5_T6_T7_T8_P12ihipStream_tbENKUlT_T0_E_clISt17integral_constantIbLb0EES17_IbLb1EEEEDaS13_S14_EUlS13_E_NS1_11comp_targetILNS1_3genE4ELNS1_11target_archE910ELNS1_3gpuE8ELNS1_3repE0EEENS1_30default_config_static_selectorELNS0_4arch9wavefront6targetE0EEEvT1_.uses_vcc, 0
	.set _ZN7rocprim17ROCPRIM_400000_NS6detail17trampoline_kernelINS0_14default_configENS1_29reduce_by_key_config_selectorIiiN6thrust23THRUST_200600_302600_NS4plusIiEEEEZZNS1_33reduce_by_key_impl_wrapped_configILNS1_25lookback_scan_determinismE0ES3_S9_NS6_18transform_iteratorI25linear_index_to_row_indexIiENS6_17counting_iteratorIiNS6_11use_defaultESG_SG_EESG_SG_EENS6_6detail15normal_iteratorINS6_10device_ptrIiEEEESN_SN_PmS8_NS6_8equal_toIiEEEE10hipError_tPvRmT2_T3_mT4_T5_T6_T7_T8_P12ihipStream_tbENKUlT_T0_E_clISt17integral_constantIbLb0EES17_IbLb1EEEEDaS13_S14_EUlS13_E_NS1_11comp_targetILNS1_3genE4ELNS1_11target_archE910ELNS1_3gpuE8ELNS1_3repE0EEENS1_30default_config_static_selectorELNS0_4arch9wavefront6targetE0EEEvT1_.uses_flat_scratch, 0
	.set _ZN7rocprim17ROCPRIM_400000_NS6detail17trampoline_kernelINS0_14default_configENS1_29reduce_by_key_config_selectorIiiN6thrust23THRUST_200600_302600_NS4plusIiEEEEZZNS1_33reduce_by_key_impl_wrapped_configILNS1_25lookback_scan_determinismE0ES3_S9_NS6_18transform_iteratorI25linear_index_to_row_indexIiENS6_17counting_iteratorIiNS6_11use_defaultESG_SG_EESG_SG_EENS6_6detail15normal_iteratorINS6_10device_ptrIiEEEESN_SN_PmS8_NS6_8equal_toIiEEEE10hipError_tPvRmT2_T3_mT4_T5_T6_T7_T8_P12ihipStream_tbENKUlT_T0_E_clISt17integral_constantIbLb0EES17_IbLb1EEEEDaS13_S14_EUlS13_E_NS1_11comp_targetILNS1_3genE4ELNS1_11target_archE910ELNS1_3gpuE8ELNS1_3repE0EEENS1_30default_config_static_selectorELNS0_4arch9wavefront6targetE0EEEvT1_.has_dyn_sized_stack, 0
	.set _ZN7rocprim17ROCPRIM_400000_NS6detail17trampoline_kernelINS0_14default_configENS1_29reduce_by_key_config_selectorIiiN6thrust23THRUST_200600_302600_NS4plusIiEEEEZZNS1_33reduce_by_key_impl_wrapped_configILNS1_25lookback_scan_determinismE0ES3_S9_NS6_18transform_iteratorI25linear_index_to_row_indexIiENS6_17counting_iteratorIiNS6_11use_defaultESG_SG_EESG_SG_EENS6_6detail15normal_iteratorINS6_10device_ptrIiEEEESN_SN_PmS8_NS6_8equal_toIiEEEE10hipError_tPvRmT2_T3_mT4_T5_T6_T7_T8_P12ihipStream_tbENKUlT_T0_E_clISt17integral_constantIbLb0EES17_IbLb1EEEEDaS13_S14_EUlS13_E_NS1_11comp_targetILNS1_3genE4ELNS1_11target_archE910ELNS1_3gpuE8ELNS1_3repE0EEENS1_30default_config_static_selectorELNS0_4arch9wavefront6targetE0EEEvT1_.has_recursion, 0
	.set _ZN7rocprim17ROCPRIM_400000_NS6detail17trampoline_kernelINS0_14default_configENS1_29reduce_by_key_config_selectorIiiN6thrust23THRUST_200600_302600_NS4plusIiEEEEZZNS1_33reduce_by_key_impl_wrapped_configILNS1_25lookback_scan_determinismE0ES3_S9_NS6_18transform_iteratorI25linear_index_to_row_indexIiENS6_17counting_iteratorIiNS6_11use_defaultESG_SG_EESG_SG_EENS6_6detail15normal_iteratorINS6_10device_ptrIiEEEESN_SN_PmS8_NS6_8equal_toIiEEEE10hipError_tPvRmT2_T3_mT4_T5_T6_T7_T8_P12ihipStream_tbENKUlT_T0_E_clISt17integral_constantIbLb0EES17_IbLb1EEEEDaS13_S14_EUlS13_E_NS1_11comp_targetILNS1_3genE4ELNS1_11target_archE910ELNS1_3gpuE8ELNS1_3repE0EEENS1_30default_config_static_selectorELNS0_4arch9wavefront6targetE0EEEvT1_.has_indirect_call, 0
	.section	.AMDGPU.csdata,"",@progbits
; Kernel info:
; codeLenInByte = 0
; TotalNumSgprs: 0
; NumVgprs: 0
; ScratchSize: 0
; MemoryBound: 0
; FloatMode: 240
; IeeeMode: 1
; LDSByteSize: 0 bytes/workgroup (compile time only)
; SGPRBlocks: 0
; VGPRBlocks: 0
; NumSGPRsForWavesPerEU: 1
; NumVGPRsForWavesPerEU: 1
; Occupancy: 16
; WaveLimiterHint : 0
; COMPUTE_PGM_RSRC2:SCRATCH_EN: 0
; COMPUTE_PGM_RSRC2:USER_SGPR: 6
; COMPUTE_PGM_RSRC2:TRAP_HANDLER: 0
; COMPUTE_PGM_RSRC2:TGID_X_EN: 1
; COMPUTE_PGM_RSRC2:TGID_Y_EN: 0
; COMPUTE_PGM_RSRC2:TGID_Z_EN: 0
; COMPUTE_PGM_RSRC2:TIDIG_COMP_CNT: 0
	.section	.text._ZN7rocprim17ROCPRIM_400000_NS6detail17trampoline_kernelINS0_14default_configENS1_29reduce_by_key_config_selectorIiiN6thrust23THRUST_200600_302600_NS4plusIiEEEEZZNS1_33reduce_by_key_impl_wrapped_configILNS1_25lookback_scan_determinismE0ES3_S9_NS6_18transform_iteratorI25linear_index_to_row_indexIiENS6_17counting_iteratorIiNS6_11use_defaultESG_SG_EESG_SG_EENS6_6detail15normal_iteratorINS6_10device_ptrIiEEEESN_SN_PmS8_NS6_8equal_toIiEEEE10hipError_tPvRmT2_T3_mT4_T5_T6_T7_T8_P12ihipStream_tbENKUlT_T0_E_clISt17integral_constantIbLb0EES17_IbLb1EEEEDaS13_S14_EUlS13_E_NS1_11comp_targetILNS1_3genE3ELNS1_11target_archE908ELNS1_3gpuE7ELNS1_3repE0EEENS1_30default_config_static_selectorELNS0_4arch9wavefront6targetE0EEEvT1_,"axG",@progbits,_ZN7rocprim17ROCPRIM_400000_NS6detail17trampoline_kernelINS0_14default_configENS1_29reduce_by_key_config_selectorIiiN6thrust23THRUST_200600_302600_NS4plusIiEEEEZZNS1_33reduce_by_key_impl_wrapped_configILNS1_25lookback_scan_determinismE0ES3_S9_NS6_18transform_iteratorI25linear_index_to_row_indexIiENS6_17counting_iteratorIiNS6_11use_defaultESG_SG_EESG_SG_EENS6_6detail15normal_iteratorINS6_10device_ptrIiEEEESN_SN_PmS8_NS6_8equal_toIiEEEE10hipError_tPvRmT2_T3_mT4_T5_T6_T7_T8_P12ihipStream_tbENKUlT_T0_E_clISt17integral_constantIbLb0EES17_IbLb1EEEEDaS13_S14_EUlS13_E_NS1_11comp_targetILNS1_3genE3ELNS1_11target_archE908ELNS1_3gpuE7ELNS1_3repE0EEENS1_30default_config_static_selectorELNS0_4arch9wavefront6targetE0EEEvT1_,comdat
	.protected	_ZN7rocprim17ROCPRIM_400000_NS6detail17trampoline_kernelINS0_14default_configENS1_29reduce_by_key_config_selectorIiiN6thrust23THRUST_200600_302600_NS4plusIiEEEEZZNS1_33reduce_by_key_impl_wrapped_configILNS1_25lookback_scan_determinismE0ES3_S9_NS6_18transform_iteratorI25linear_index_to_row_indexIiENS6_17counting_iteratorIiNS6_11use_defaultESG_SG_EESG_SG_EENS6_6detail15normal_iteratorINS6_10device_ptrIiEEEESN_SN_PmS8_NS6_8equal_toIiEEEE10hipError_tPvRmT2_T3_mT4_T5_T6_T7_T8_P12ihipStream_tbENKUlT_T0_E_clISt17integral_constantIbLb0EES17_IbLb1EEEEDaS13_S14_EUlS13_E_NS1_11comp_targetILNS1_3genE3ELNS1_11target_archE908ELNS1_3gpuE7ELNS1_3repE0EEENS1_30default_config_static_selectorELNS0_4arch9wavefront6targetE0EEEvT1_ ; -- Begin function _ZN7rocprim17ROCPRIM_400000_NS6detail17trampoline_kernelINS0_14default_configENS1_29reduce_by_key_config_selectorIiiN6thrust23THRUST_200600_302600_NS4plusIiEEEEZZNS1_33reduce_by_key_impl_wrapped_configILNS1_25lookback_scan_determinismE0ES3_S9_NS6_18transform_iteratorI25linear_index_to_row_indexIiENS6_17counting_iteratorIiNS6_11use_defaultESG_SG_EESG_SG_EENS6_6detail15normal_iteratorINS6_10device_ptrIiEEEESN_SN_PmS8_NS6_8equal_toIiEEEE10hipError_tPvRmT2_T3_mT4_T5_T6_T7_T8_P12ihipStream_tbENKUlT_T0_E_clISt17integral_constantIbLb0EES17_IbLb1EEEEDaS13_S14_EUlS13_E_NS1_11comp_targetILNS1_3genE3ELNS1_11target_archE908ELNS1_3gpuE7ELNS1_3repE0EEENS1_30default_config_static_selectorELNS0_4arch9wavefront6targetE0EEEvT1_
	.globl	_ZN7rocprim17ROCPRIM_400000_NS6detail17trampoline_kernelINS0_14default_configENS1_29reduce_by_key_config_selectorIiiN6thrust23THRUST_200600_302600_NS4plusIiEEEEZZNS1_33reduce_by_key_impl_wrapped_configILNS1_25lookback_scan_determinismE0ES3_S9_NS6_18transform_iteratorI25linear_index_to_row_indexIiENS6_17counting_iteratorIiNS6_11use_defaultESG_SG_EESG_SG_EENS6_6detail15normal_iteratorINS6_10device_ptrIiEEEESN_SN_PmS8_NS6_8equal_toIiEEEE10hipError_tPvRmT2_T3_mT4_T5_T6_T7_T8_P12ihipStream_tbENKUlT_T0_E_clISt17integral_constantIbLb0EES17_IbLb1EEEEDaS13_S14_EUlS13_E_NS1_11comp_targetILNS1_3genE3ELNS1_11target_archE908ELNS1_3gpuE7ELNS1_3repE0EEENS1_30default_config_static_selectorELNS0_4arch9wavefront6targetE0EEEvT1_
	.p2align	8
	.type	_ZN7rocprim17ROCPRIM_400000_NS6detail17trampoline_kernelINS0_14default_configENS1_29reduce_by_key_config_selectorIiiN6thrust23THRUST_200600_302600_NS4plusIiEEEEZZNS1_33reduce_by_key_impl_wrapped_configILNS1_25lookback_scan_determinismE0ES3_S9_NS6_18transform_iteratorI25linear_index_to_row_indexIiENS6_17counting_iteratorIiNS6_11use_defaultESG_SG_EESG_SG_EENS6_6detail15normal_iteratorINS6_10device_ptrIiEEEESN_SN_PmS8_NS6_8equal_toIiEEEE10hipError_tPvRmT2_T3_mT4_T5_T6_T7_T8_P12ihipStream_tbENKUlT_T0_E_clISt17integral_constantIbLb0EES17_IbLb1EEEEDaS13_S14_EUlS13_E_NS1_11comp_targetILNS1_3genE3ELNS1_11target_archE908ELNS1_3gpuE7ELNS1_3repE0EEENS1_30default_config_static_selectorELNS0_4arch9wavefront6targetE0EEEvT1_,@function
_ZN7rocprim17ROCPRIM_400000_NS6detail17trampoline_kernelINS0_14default_configENS1_29reduce_by_key_config_selectorIiiN6thrust23THRUST_200600_302600_NS4plusIiEEEEZZNS1_33reduce_by_key_impl_wrapped_configILNS1_25lookback_scan_determinismE0ES3_S9_NS6_18transform_iteratorI25linear_index_to_row_indexIiENS6_17counting_iteratorIiNS6_11use_defaultESG_SG_EESG_SG_EENS6_6detail15normal_iteratorINS6_10device_ptrIiEEEESN_SN_PmS8_NS6_8equal_toIiEEEE10hipError_tPvRmT2_T3_mT4_T5_T6_T7_T8_P12ihipStream_tbENKUlT_T0_E_clISt17integral_constantIbLb0EES17_IbLb1EEEEDaS13_S14_EUlS13_E_NS1_11comp_targetILNS1_3genE3ELNS1_11target_archE908ELNS1_3gpuE7ELNS1_3repE0EEENS1_30default_config_static_selectorELNS0_4arch9wavefront6targetE0EEEvT1_: ; @_ZN7rocprim17ROCPRIM_400000_NS6detail17trampoline_kernelINS0_14default_configENS1_29reduce_by_key_config_selectorIiiN6thrust23THRUST_200600_302600_NS4plusIiEEEEZZNS1_33reduce_by_key_impl_wrapped_configILNS1_25lookback_scan_determinismE0ES3_S9_NS6_18transform_iteratorI25linear_index_to_row_indexIiENS6_17counting_iteratorIiNS6_11use_defaultESG_SG_EESG_SG_EENS6_6detail15normal_iteratorINS6_10device_ptrIiEEEESN_SN_PmS8_NS6_8equal_toIiEEEE10hipError_tPvRmT2_T3_mT4_T5_T6_T7_T8_P12ihipStream_tbENKUlT_T0_E_clISt17integral_constantIbLb0EES17_IbLb1EEEEDaS13_S14_EUlS13_E_NS1_11comp_targetILNS1_3genE3ELNS1_11target_archE908ELNS1_3gpuE7ELNS1_3repE0EEENS1_30default_config_static_selectorELNS0_4arch9wavefront6targetE0EEEvT1_
; %bb.0:
	.section	.rodata,"a",@progbits
	.p2align	6, 0x0
	.amdhsa_kernel _ZN7rocprim17ROCPRIM_400000_NS6detail17trampoline_kernelINS0_14default_configENS1_29reduce_by_key_config_selectorIiiN6thrust23THRUST_200600_302600_NS4plusIiEEEEZZNS1_33reduce_by_key_impl_wrapped_configILNS1_25lookback_scan_determinismE0ES3_S9_NS6_18transform_iteratorI25linear_index_to_row_indexIiENS6_17counting_iteratorIiNS6_11use_defaultESG_SG_EESG_SG_EENS6_6detail15normal_iteratorINS6_10device_ptrIiEEEESN_SN_PmS8_NS6_8equal_toIiEEEE10hipError_tPvRmT2_T3_mT4_T5_T6_T7_T8_P12ihipStream_tbENKUlT_T0_E_clISt17integral_constantIbLb0EES17_IbLb1EEEEDaS13_S14_EUlS13_E_NS1_11comp_targetILNS1_3genE3ELNS1_11target_archE908ELNS1_3gpuE7ELNS1_3repE0EEENS1_30default_config_static_selectorELNS0_4arch9wavefront6targetE0EEEvT1_
		.amdhsa_group_segment_fixed_size 0
		.amdhsa_private_segment_fixed_size 0
		.amdhsa_kernarg_size 120
		.amdhsa_user_sgpr_count 6
		.amdhsa_user_sgpr_private_segment_buffer 1
		.amdhsa_user_sgpr_dispatch_ptr 0
		.amdhsa_user_sgpr_queue_ptr 0
		.amdhsa_user_sgpr_kernarg_segment_ptr 1
		.amdhsa_user_sgpr_dispatch_id 0
		.amdhsa_user_sgpr_flat_scratch_init 0
		.amdhsa_user_sgpr_private_segment_size 0
		.amdhsa_wavefront_size32 1
		.amdhsa_uses_dynamic_stack 0
		.amdhsa_system_sgpr_private_segment_wavefront_offset 0
		.amdhsa_system_sgpr_workgroup_id_x 1
		.amdhsa_system_sgpr_workgroup_id_y 0
		.amdhsa_system_sgpr_workgroup_id_z 0
		.amdhsa_system_sgpr_workgroup_info 0
		.amdhsa_system_vgpr_workitem_id 0
		.amdhsa_next_free_vgpr 1
		.amdhsa_next_free_sgpr 1
		.amdhsa_reserve_vcc 0
		.amdhsa_reserve_flat_scratch 0
		.amdhsa_float_round_mode_32 0
		.amdhsa_float_round_mode_16_64 0
		.amdhsa_float_denorm_mode_32 3
		.amdhsa_float_denorm_mode_16_64 3
		.amdhsa_dx10_clamp 1
		.amdhsa_ieee_mode 1
		.amdhsa_fp16_overflow 0
		.amdhsa_workgroup_processor_mode 1
		.amdhsa_memory_ordered 1
		.amdhsa_forward_progress 1
		.amdhsa_shared_vgpr_count 0
		.amdhsa_exception_fp_ieee_invalid_op 0
		.amdhsa_exception_fp_denorm_src 0
		.amdhsa_exception_fp_ieee_div_zero 0
		.amdhsa_exception_fp_ieee_overflow 0
		.amdhsa_exception_fp_ieee_underflow 0
		.amdhsa_exception_fp_ieee_inexact 0
		.amdhsa_exception_int_div_zero 0
	.end_amdhsa_kernel
	.section	.text._ZN7rocprim17ROCPRIM_400000_NS6detail17trampoline_kernelINS0_14default_configENS1_29reduce_by_key_config_selectorIiiN6thrust23THRUST_200600_302600_NS4plusIiEEEEZZNS1_33reduce_by_key_impl_wrapped_configILNS1_25lookback_scan_determinismE0ES3_S9_NS6_18transform_iteratorI25linear_index_to_row_indexIiENS6_17counting_iteratorIiNS6_11use_defaultESG_SG_EESG_SG_EENS6_6detail15normal_iteratorINS6_10device_ptrIiEEEESN_SN_PmS8_NS6_8equal_toIiEEEE10hipError_tPvRmT2_T3_mT4_T5_T6_T7_T8_P12ihipStream_tbENKUlT_T0_E_clISt17integral_constantIbLb0EES17_IbLb1EEEEDaS13_S14_EUlS13_E_NS1_11comp_targetILNS1_3genE3ELNS1_11target_archE908ELNS1_3gpuE7ELNS1_3repE0EEENS1_30default_config_static_selectorELNS0_4arch9wavefront6targetE0EEEvT1_,"axG",@progbits,_ZN7rocprim17ROCPRIM_400000_NS6detail17trampoline_kernelINS0_14default_configENS1_29reduce_by_key_config_selectorIiiN6thrust23THRUST_200600_302600_NS4plusIiEEEEZZNS1_33reduce_by_key_impl_wrapped_configILNS1_25lookback_scan_determinismE0ES3_S9_NS6_18transform_iteratorI25linear_index_to_row_indexIiENS6_17counting_iteratorIiNS6_11use_defaultESG_SG_EESG_SG_EENS6_6detail15normal_iteratorINS6_10device_ptrIiEEEESN_SN_PmS8_NS6_8equal_toIiEEEE10hipError_tPvRmT2_T3_mT4_T5_T6_T7_T8_P12ihipStream_tbENKUlT_T0_E_clISt17integral_constantIbLb0EES17_IbLb1EEEEDaS13_S14_EUlS13_E_NS1_11comp_targetILNS1_3genE3ELNS1_11target_archE908ELNS1_3gpuE7ELNS1_3repE0EEENS1_30default_config_static_selectorELNS0_4arch9wavefront6targetE0EEEvT1_,comdat
.Lfunc_end44:
	.size	_ZN7rocprim17ROCPRIM_400000_NS6detail17trampoline_kernelINS0_14default_configENS1_29reduce_by_key_config_selectorIiiN6thrust23THRUST_200600_302600_NS4plusIiEEEEZZNS1_33reduce_by_key_impl_wrapped_configILNS1_25lookback_scan_determinismE0ES3_S9_NS6_18transform_iteratorI25linear_index_to_row_indexIiENS6_17counting_iteratorIiNS6_11use_defaultESG_SG_EESG_SG_EENS6_6detail15normal_iteratorINS6_10device_ptrIiEEEESN_SN_PmS8_NS6_8equal_toIiEEEE10hipError_tPvRmT2_T3_mT4_T5_T6_T7_T8_P12ihipStream_tbENKUlT_T0_E_clISt17integral_constantIbLb0EES17_IbLb1EEEEDaS13_S14_EUlS13_E_NS1_11comp_targetILNS1_3genE3ELNS1_11target_archE908ELNS1_3gpuE7ELNS1_3repE0EEENS1_30default_config_static_selectorELNS0_4arch9wavefront6targetE0EEEvT1_, .Lfunc_end44-_ZN7rocprim17ROCPRIM_400000_NS6detail17trampoline_kernelINS0_14default_configENS1_29reduce_by_key_config_selectorIiiN6thrust23THRUST_200600_302600_NS4plusIiEEEEZZNS1_33reduce_by_key_impl_wrapped_configILNS1_25lookback_scan_determinismE0ES3_S9_NS6_18transform_iteratorI25linear_index_to_row_indexIiENS6_17counting_iteratorIiNS6_11use_defaultESG_SG_EESG_SG_EENS6_6detail15normal_iteratorINS6_10device_ptrIiEEEESN_SN_PmS8_NS6_8equal_toIiEEEE10hipError_tPvRmT2_T3_mT4_T5_T6_T7_T8_P12ihipStream_tbENKUlT_T0_E_clISt17integral_constantIbLb0EES17_IbLb1EEEEDaS13_S14_EUlS13_E_NS1_11comp_targetILNS1_3genE3ELNS1_11target_archE908ELNS1_3gpuE7ELNS1_3repE0EEENS1_30default_config_static_selectorELNS0_4arch9wavefront6targetE0EEEvT1_
                                        ; -- End function
	.set _ZN7rocprim17ROCPRIM_400000_NS6detail17trampoline_kernelINS0_14default_configENS1_29reduce_by_key_config_selectorIiiN6thrust23THRUST_200600_302600_NS4plusIiEEEEZZNS1_33reduce_by_key_impl_wrapped_configILNS1_25lookback_scan_determinismE0ES3_S9_NS6_18transform_iteratorI25linear_index_to_row_indexIiENS6_17counting_iteratorIiNS6_11use_defaultESG_SG_EESG_SG_EENS6_6detail15normal_iteratorINS6_10device_ptrIiEEEESN_SN_PmS8_NS6_8equal_toIiEEEE10hipError_tPvRmT2_T3_mT4_T5_T6_T7_T8_P12ihipStream_tbENKUlT_T0_E_clISt17integral_constantIbLb0EES17_IbLb1EEEEDaS13_S14_EUlS13_E_NS1_11comp_targetILNS1_3genE3ELNS1_11target_archE908ELNS1_3gpuE7ELNS1_3repE0EEENS1_30default_config_static_selectorELNS0_4arch9wavefront6targetE0EEEvT1_.num_vgpr, 0
	.set _ZN7rocprim17ROCPRIM_400000_NS6detail17trampoline_kernelINS0_14default_configENS1_29reduce_by_key_config_selectorIiiN6thrust23THRUST_200600_302600_NS4plusIiEEEEZZNS1_33reduce_by_key_impl_wrapped_configILNS1_25lookback_scan_determinismE0ES3_S9_NS6_18transform_iteratorI25linear_index_to_row_indexIiENS6_17counting_iteratorIiNS6_11use_defaultESG_SG_EESG_SG_EENS6_6detail15normal_iteratorINS6_10device_ptrIiEEEESN_SN_PmS8_NS6_8equal_toIiEEEE10hipError_tPvRmT2_T3_mT4_T5_T6_T7_T8_P12ihipStream_tbENKUlT_T0_E_clISt17integral_constantIbLb0EES17_IbLb1EEEEDaS13_S14_EUlS13_E_NS1_11comp_targetILNS1_3genE3ELNS1_11target_archE908ELNS1_3gpuE7ELNS1_3repE0EEENS1_30default_config_static_selectorELNS0_4arch9wavefront6targetE0EEEvT1_.num_agpr, 0
	.set _ZN7rocprim17ROCPRIM_400000_NS6detail17trampoline_kernelINS0_14default_configENS1_29reduce_by_key_config_selectorIiiN6thrust23THRUST_200600_302600_NS4plusIiEEEEZZNS1_33reduce_by_key_impl_wrapped_configILNS1_25lookback_scan_determinismE0ES3_S9_NS6_18transform_iteratorI25linear_index_to_row_indexIiENS6_17counting_iteratorIiNS6_11use_defaultESG_SG_EESG_SG_EENS6_6detail15normal_iteratorINS6_10device_ptrIiEEEESN_SN_PmS8_NS6_8equal_toIiEEEE10hipError_tPvRmT2_T3_mT4_T5_T6_T7_T8_P12ihipStream_tbENKUlT_T0_E_clISt17integral_constantIbLb0EES17_IbLb1EEEEDaS13_S14_EUlS13_E_NS1_11comp_targetILNS1_3genE3ELNS1_11target_archE908ELNS1_3gpuE7ELNS1_3repE0EEENS1_30default_config_static_selectorELNS0_4arch9wavefront6targetE0EEEvT1_.numbered_sgpr, 0
	.set _ZN7rocprim17ROCPRIM_400000_NS6detail17trampoline_kernelINS0_14default_configENS1_29reduce_by_key_config_selectorIiiN6thrust23THRUST_200600_302600_NS4plusIiEEEEZZNS1_33reduce_by_key_impl_wrapped_configILNS1_25lookback_scan_determinismE0ES3_S9_NS6_18transform_iteratorI25linear_index_to_row_indexIiENS6_17counting_iteratorIiNS6_11use_defaultESG_SG_EESG_SG_EENS6_6detail15normal_iteratorINS6_10device_ptrIiEEEESN_SN_PmS8_NS6_8equal_toIiEEEE10hipError_tPvRmT2_T3_mT4_T5_T6_T7_T8_P12ihipStream_tbENKUlT_T0_E_clISt17integral_constantIbLb0EES17_IbLb1EEEEDaS13_S14_EUlS13_E_NS1_11comp_targetILNS1_3genE3ELNS1_11target_archE908ELNS1_3gpuE7ELNS1_3repE0EEENS1_30default_config_static_selectorELNS0_4arch9wavefront6targetE0EEEvT1_.num_named_barrier, 0
	.set _ZN7rocprim17ROCPRIM_400000_NS6detail17trampoline_kernelINS0_14default_configENS1_29reduce_by_key_config_selectorIiiN6thrust23THRUST_200600_302600_NS4plusIiEEEEZZNS1_33reduce_by_key_impl_wrapped_configILNS1_25lookback_scan_determinismE0ES3_S9_NS6_18transform_iteratorI25linear_index_to_row_indexIiENS6_17counting_iteratorIiNS6_11use_defaultESG_SG_EESG_SG_EENS6_6detail15normal_iteratorINS6_10device_ptrIiEEEESN_SN_PmS8_NS6_8equal_toIiEEEE10hipError_tPvRmT2_T3_mT4_T5_T6_T7_T8_P12ihipStream_tbENKUlT_T0_E_clISt17integral_constantIbLb0EES17_IbLb1EEEEDaS13_S14_EUlS13_E_NS1_11comp_targetILNS1_3genE3ELNS1_11target_archE908ELNS1_3gpuE7ELNS1_3repE0EEENS1_30default_config_static_selectorELNS0_4arch9wavefront6targetE0EEEvT1_.private_seg_size, 0
	.set _ZN7rocprim17ROCPRIM_400000_NS6detail17trampoline_kernelINS0_14default_configENS1_29reduce_by_key_config_selectorIiiN6thrust23THRUST_200600_302600_NS4plusIiEEEEZZNS1_33reduce_by_key_impl_wrapped_configILNS1_25lookback_scan_determinismE0ES3_S9_NS6_18transform_iteratorI25linear_index_to_row_indexIiENS6_17counting_iteratorIiNS6_11use_defaultESG_SG_EESG_SG_EENS6_6detail15normal_iteratorINS6_10device_ptrIiEEEESN_SN_PmS8_NS6_8equal_toIiEEEE10hipError_tPvRmT2_T3_mT4_T5_T6_T7_T8_P12ihipStream_tbENKUlT_T0_E_clISt17integral_constantIbLb0EES17_IbLb1EEEEDaS13_S14_EUlS13_E_NS1_11comp_targetILNS1_3genE3ELNS1_11target_archE908ELNS1_3gpuE7ELNS1_3repE0EEENS1_30default_config_static_selectorELNS0_4arch9wavefront6targetE0EEEvT1_.uses_vcc, 0
	.set _ZN7rocprim17ROCPRIM_400000_NS6detail17trampoline_kernelINS0_14default_configENS1_29reduce_by_key_config_selectorIiiN6thrust23THRUST_200600_302600_NS4plusIiEEEEZZNS1_33reduce_by_key_impl_wrapped_configILNS1_25lookback_scan_determinismE0ES3_S9_NS6_18transform_iteratorI25linear_index_to_row_indexIiENS6_17counting_iteratorIiNS6_11use_defaultESG_SG_EESG_SG_EENS6_6detail15normal_iteratorINS6_10device_ptrIiEEEESN_SN_PmS8_NS6_8equal_toIiEEEE10hipError_tPvRmT2_T3_mT4_T5_T6_T7_T8_P12ihipStream_tbENKUlT_T0_E_clISt17integral_constantIbLb0EES17_IbLb1EEEEDaS13_S14_EUlS13_E_NS1_11comp_targetILNS1_3genE3ELNS1_11target_archE908ELNS1_3gpuE7ELNS1_3repE0EEENS1_30default_config_static_selectorELNS0_4arch9wavefront6targetE0EEEvT1_.uses_flat_scratch, 0
	.set _ZN7rocprim17ROCPRIM_400000_NS6detail17trampoline_kernelINS0_14default_configENS1_29reduce_by_key_config_selectorIiiN6thrust23THRUST_200600_302600_NS4plusIiEEEEZZNS1_33reduce_by_key_impl_wrapped_configILNS1_25lookback_scan_determinismE0ES3_S9_NS6_18transform_iteratorI25linear_index_to_row_indexIiENS6_17counting_iteratorIiNS6_11use_defaultESG_SG_EESG_SG_EENS6_6detail15normal_iteratorINS6_10device_ptrIiEEEESN_SN_PmS8_NS6_8equal_toIiEEEE10hipError_tPvRmT2_T3_mT4_T5_T6_T7_T8_P12ihipStream_tbENKUlT_T0_E_clISt17integral_constantIbLb0EES17_IbLb1EEEEDaS13_S14_EUlS13_E_NS1_11comp_targetILNS1_3genE3ELNS1_11target_archE908ELNS1_3gpuE7ELNS1_3repE0EEENS1_30default_config_static_selectorELNS0_4arch9wavefront6targetE0EEEvT1_.has_dyn_sized_stack, 0
	.set _ZN7rocprim17ROCPRIM_400000_NS6detail17trampoline_kernelINS0_14default_configENS1_29reduce_by_key_config_selectorIiiN6thrust23THRUST_200600_302600_NS4plusIiEEEEZZNS1_33reduce_by_key_impl_wrapped_configILNS1_25lookback_scan_determinismE0ES3_S9_NS6_18transform_iteratorI25linear_index_to_row_indexIiENS6_17counting_iteratorIiNS6_11use_defaultESG_SG_EESG_SG_EENS6_6detail15normal_iteratorINS6_10device_ptrIiEEEESN_SN_PmS8_NS6_8equal_toIiEEEE10hipError_tPvRmT2_T3_mT4_T5_T6_T7_T8_P12ihipStream_tbENKUlT_T0_E_clISt17integral_constantIbLb0EES17_IbLb1EEEEDaS13_S14_EUlS13_E_NS1_11comp_targetILNS1_3genE3ELNS1_11target_archE908ELNS1_3gpuE7ELNS1_3repE0EEENS1_30default_config_static_selectorELNS0_4arch9wavefront6targetE0EEEvT1_.has_recursion, 0
	.set _ZN7rocprim17ROCPRIM_400000_NS6detail17trampoline_kernelINS0_14default_configENS1_29reduce_by_key_config_selectorIiiN6thrust23THRUST_200600_302600_NS4plusIiEEEEZZNS1_33reduce_by_key_impl_wrapped_configILNS1_25lookback_scan_determinismE0ES3_S9_NS6_18transform_iteratorI25linear_index_to_row_indexIiENS6_17counting_iteratorIiNS6_11use_defaultESG_SG_EESG_SG_EENS6_6detail15normal_iteratorINS6_10device_ptrIiEEEESN_SN_PmS8_NS6_8equal_toIiEEEE10hipError_tPvRmT2_T3_mT4_T5_T6_T7_T8_P12ihipStream_tbENKUlT_T0_E_clISt17integral_constantIbLb0EES17_IbLb1EEEEDaS13_S14_EUlS13_E_NS1_11comp_targetILNS1_3genE3ELNS1_11target_archE908ELNS1_3gpuE7ELNS1_3repE0EEENS1_30default_config_static_selectorELNS0_4arch9wavefront6targetE0EEEvT1_.has_indirect_call, 0
	.section	.AMDGPU.csdata,"",@progbits
; Kernel info:
; codeLenInByte = 0
; TotalNumSgprs: 0
; NumVgprs: 0
; ScratchSize: 0
; MemoryBound: 0
; FloatMode: 240
; IeeeMode: 1
; LDSByteSize: 0 bytes/workgroup (compile time only)
; SGPRBlocks: 0
; VGPRBlocks: 0
; NumSGPRsForWavesPerEU: 1
; NumVGPRsForWavesPerEU: 1
; Occupancy: 16
; WaveLimiterHint : 0
; COMPUTE_PGM_RSRC2:SCRATCH_EN: 0
; COMPUTE_PGM_RSRC2:USER_SGPR: 6
; COMPUTE_PGM_RSRC2:TRAP_HANDLER: 0
; COMPUTE_PGM_RSRC2:TGID_X_EN: 1
; COMPUTE_PGM_RSRC2:TGID_Y_EN: 0
; COMPUTE_PGM_RSRC2:TGID_Z_EN: 0
; COMPUTE_PGM_RSRC2:TIDIG_COMP_CNT: 0
	.section	.text._ZN7rocprim17ROCPRIM_400000_NS6detail17trampoline_kernelINS0_14default_configENS1_29reduce_by_key_config_selectorIiiN6thrust23THRUST_200600_302600_NS4plusIiEEEEZZNS1_33reduce_by_key_impl_wrapped_configILNS1_25lookback_scan_determinismE0ES3_S9_NS6_18transform_iteratorI25linear_index_to_row_indexIiENS6_17counting_iteratorIiNS6_11use_defaultESG_SG_EESG_SG_EENS6_6detail15normal_iteratorINS6_10device_ptrIiEEEESN_SN_PmS8_NS6_8equal_toIiEEEE10hipError_tPvRmT2_T3_mT4_T5_T6_T7_T8_P12ihipStream_tbENKUlT_T0_E_clISt17integral_constantIbLb0EES17_IbLb1EEEEDaS13_S14_EUlS13_E_NS1_11comp_targetILNS1_3genE2ELNS1_11target_archE906ELNS1_3gpuE6ELNS1_3repE0EEENS1_30default_config_static_selectorELNS0_4arch9wavefront6targetE0EEEvT1_,"axG",@progbits,_ZN7rocprim17ROCPRIM_400000_NS6detail17trampoline_kernelINS0_14default_configENS1_29reduce_by_key_config_selectorIiiN6thrust23THRUST_200600_302600_NS4plusIiEEEEZZNS1_33reduce_by_key_impl_wrapped_configILNS1_25lookback_scan_determinismE0ES3_S9_NS6_18transform_iteratorI25linear_index_to_row_indexIiENS6_17counting_iteratorIiNS6_11use_defaultESG_SG_EESG_SG_EENS6_6detail15normal_iteratorINS6_10device_ptrIiEEEESN_SN_PmS8_NS6_8equal_toIiEEEE10hipError_tPvRmT2_T3_mT4_T5_T6_T7_T8_P12ihipStream_tbENKUlT_T0_E_clISt17integral_constantIbLb0EES17_IbLb1EEEEDaS13_S14_EUlS13_E_NS1_11comp_targetILNS1_3genE2ELNS1_11target_archE906ELNS1_3gpuE6ELNS1_3repE0EEENS1_30default_config_static_selectorELNS0_4arch9wavefront6targetE0EEEvT1_,comdat
	.protected	_ZN7rocprim17ROCPRIM_400000_NS6detail17trampoline_kernelINS0_14default_configENS1_29reduce_by_key_config_selectorIiiN6thrust23THRUST_200600_302600_NS4plusIiEEEEZZNS1_33reduce_by_key_impl_wrapped_configILNS1_25lookback_scan_determinismE0ES3_S9_NS6_18transform_iteratorI25linear_index_to_row_indexIiENS6_17counting_iteratorIiNS6_11use_defaultESG_SG_EESG_SG_EENS6_6detail15normal_iteratorINS6_10device_ptrIiEEEESN_SN_PmS8_NS6_8equal_toIiEEEE10hipError_tPvRmT2_T3_mT4_T5_T6_T7_T8_P12ihipStream_tbENKUlT_T0_E_clISt17integral_constantIbLb0EES17_IbLb1EEEEDaS13_S14_EUlS13_E_NS1_11comp_targetILNS1_3genE2ELNS1_11target_archE906ELNS1_3gpuE6ELNS1_3repE0EEENS1_30default_config_static_selectorELNS0_4arch9wavefront6targetE0EEEvT1_ ; -- Begin function _ZN7rocprim17ROCPRIM_400000_NS6detail17trampoline_kernelINS0_14default_configENS1_29reduce_by_key_config_selectorIiiN6thrust23THRUST_200600_302600_NS4plusIiEEEEZZNS1_33reduce_by_key_impl_wrapped_configILNS1_25lookback_scan_determinismE0ES3_S9_NS6_18transform_iteratorI25linear_index_to_row_indexIiENS6_17counting_iteratorIiNS6_11use_defaultESG_SG_EESG_SG_EENS6_6detail15normal_iteratorINS6_10device_ptrIiEEEESN_SN_PmS8_NS6_8equal_toIiEEEE10hipError_tPvRmT2_T3_mT4_T5_T6_T7_T8_P12ihipStream_tbENKUlT_T0_E_clISt17integral_constantIbLb0EES17_IbLb1EEEEDaS13_S14_EUlS13_E_NS1_11comp_targetILNS1_3genE2ELNS1_11target_archE906ELNS1_3gpuE6ELNS1_3repE0EEENS1_30default_config_static_selectorELNS0_4arch9wavefront6targetE0EEEvT1_
	.globl	_ZN7rocprim17ROCPRIM_400000_NS6detail17trampoline_kernelINS0_14default_configENS1_29reduce_by_key_config_selectorIiiN6thrust23THRUST_200600_302600_NS4plusIiEEEEZZNS1_33reduce_by_key_impl_wrapped_configILNS1_25lookback_scan_determinismE0ES3_S9_NS6_18transform_iteratorI25linear_index_to_row_indexIiENS6_17counting_iteratorIiNS6_11use_defaultESG_SG_EESG_SG_EENS6_6detail15normal_iteratorINS6_10device_ptrIiEEEESN_SN_PmS8_NS6_8equal_toIiEEEE10hipError_tPvRmT2_T3_mT4_T5_T6_T7_T8_P12ihipStream_tbENKUlT_T0_E_clISt17integral_constantIbLb0EES17_IbLb1EEEEDaS13_S14_EUlS13_E_NS1_11comp_targetILNS1_3genE2ELNS1_11target_archE906ELNS1_3gpuE6ELNS1_3repE0EEENS1_30default_config_static_selectorELNS0_4arch9wavefront6targetE0EEEvT1_
	.p2align	8
	.type	_ZN7rocprim17ROCPRIM_400000_NS6detail17trampoline_kernelINS0_14default_configENS1_29reduce_by_key_config_selectorIiiN6thrust23THRUST_200600_302600_NS4plusIiEEEEZZNS1_33reduce_by_key_impl_wrapped_configILNS1_25lookback_scan_determinismE0ES3_S9_NS6_18transform_iteratorI25linear_index_to_row_indexIiENS6_17counting_iteratorIiNS6_11use_defaultESG_SG_EESG_SG_EENS6_6detail15normal_iteratorINS6_10device_ptrIiEEEESN_SN_PmS8_NS6_8equal_toIiEEEE10hipError_tPvRmT2_T3_mT4_T5_T6_T7_T8_P12ihipStream_tbENKUlT_T0_E_clISt17integral_constantIbLb0EES17_IbLb1EEEEDaS13_S14_EUlS13_E_NS1_11comp_targetILNS1_3genE2ELNS1_11target_archE906ELNS1_3gpuE6ELNS1_3repE0EEENS1_30default_config_static_selectorELNS0_4arch9wavefront6targetE0EEEvT1_,@function
_ZN7rocprim17ROCPRIM_400000_NS6detail17trampoline_kernelINS0_14default_configENS1_29reduce_by_key_config_selectorIiiN6thrust23THRUST_200600_302600_NS4plusIiEEEEZZNS1_33reduce_by_key_impl_wrapped_configILNS1_25lookback_scan_determinismE0ES3_S9_NS6_18transform_iteratorI25linear_index_to_row_indexIiENS6_17counting_iteratorIiNS6_11use_defaultESG_SG_EESG_SG_EENS6_6detail15normal_iteratorINS6_10device_ptrIiEEEESN_SN_PmS8_NS6_8equal_toIiEEEE10hipError_tPvRmT2_T3_mT4_T5_T6_T7_T8_P12ihipStream_tbENKUlT_T0_E_clISt17integral_constantIbLb0EES17_IbLb1EEEEDaS13_S14_EUlS13_E_NS1_11comp_targetILNS1_3genE2ELNS1_11target_archE906ELNS1_3gpuE6ELNS1_3repE0EEENS1_30default_config_static_selectorELNS0_4arch9wavefront6targetE0EEEvT1_: ; @_ZN7rocprim17ROCPRIM_400000_NS6detail17trampoline_kernelINS0_14default_configENS1_29reduce_by_key_config_selectorIiiN6thrust23THRUST_200600_302600_NS4plusIiEEEEZZNS1_33reduce_by_key_impl_wrapped_configILNS1_25lookback_scan_determinismE0ES3_S9_NS6_18transform_iteratorI25linear_index_to_row_indexIiENS6_17counting_iteratorIiNS6_11use_defaultESG_SG_EESG_SG_EENS6_6detail15normal_iteratorINS6_10device_ptrIiEEEESN_SN_PmS8_NS6_8equal_toIiEEEE10hipError_tPvRmT2_T3_mT4_T5_T6_T7_T8_P12ihipStream_tbENKUlT_T0_E_clISt17integral_constantIbLb0EES17_IbLb1EEEEDaS13_S14_EUlS13_E_NS1_11comp_targetILNS1_3genE2ELNS1_11target_archE906ELNS1_3gpuE6ELNS1_3repE0EEENS1_30default_config_static_selectorELNS0_4arch9wavefront6targetE0EEEvT1_
; %bb.0:
	.section	.rodata,"a",@progbits
	.p2align	6, 0x0
	.amdhsa_kernel _ZN7rocprim17ROCPRIM_400000_NS6detail17trampoline_kernelINS0_14default_configENS1_29reduce_by_key_config_selectorIiiN6thrust23THRUST_200600_302600_NS4plusIiEEEEZZNS1_33reduce_by_key_impl_wrapped_configILNS1_25lookback_scan_determinismE0ES3_S9_NS6_18transform_iteratorI25linear_index_to_row_indexIiENS6_17counting_iteratorIiNS6_11use_defaultESG_SG_EESG_SG_EENS6_6detail15normal_iteratorINS6_10device_ptrIiEEEESN_SN_PmS8_NS6_8equal_toIiEEEE10hipError_tPvRmT2_T3_mT4_T5_T6_T7_T8_P12ihipStream_tbENKUlT_T0_E_clISt17integral_constantIbLb0EES17_IbLb1EEEEDaS13_S14_EUlS13_E_NS1_11comp_targetILNS1_3genE2ELNS1_11target_archE906ELNS1_3gpuE6ELNS1_3repE0EEENS1_30default_config_static_selectorELNS0_4arch9wavefront6targetE0EEEvT1_
		.amdhsa_group_segment_fixed_size 0
		.amdhsa_private_segment_fixed_size 0
		.amdhsa_kernarg_size 120
		.amdhsa_user_sgpr_count 6
		.amdhsa_user_sgpr_private_segment_buffer 1
		.amdhsa_user_sgpr_dispatch_ptr 0
		.amdhsa_user_sgpr_queue_ptr 0
		.amdhsa_user_sgpr_kernarg_segment_ptr 1
		.amdhsa_user_sgpr_dispatch_id 0
		.amdhsa_user_sgpr_flat_scratch_init 0
		.amdhsa_user_sgpr_private_segment_size 0
		.amdhsa_wavefront_size32 1
		.amdhsa_uses_dynamic_stack 0
		.amdhsa_system_sgpr_private_segment_wavefront_offset 0
		.amdhsa_system_sgpr_workgroup_id_x 1
		.amdhsa_system_sgpr_workgroup_id_y 0
		.amdhsa_system_sgpr_workgroup_id_z 0
		.amdhsa_system_sgpr_workgroup_info 0
		.amdhsa_system_vgpr_workitem_id 0
		.amdhsa_next_free_vgpr 1
		.amdhsa_next_free_sgpr 1
		.amdhsa_reserve_vcc 0
		.amdhsa_reserve_flat_scratch 0
		.amdhsa_float_round_mode_32 0
		.amdhsa_float_round_mode_16_64 0
		.amdhsa_float_denorm_mode_32 3
		.amdhsa_float_denorm_mode_16_64 3
		.amdhsa_dx10_clamp 1
		.amdhsa_ieee_mode 1
		.amdhsa_fp16_overflow 0
		.amdhsa_workgroup_processor_mode 1
		.amdhsa_memory_ordered 1
		.amdhsa_forward_progress 1
		.amdhsa_shared_vgpr_count 0
		.amdhsa_exception_fp_ieee_invalid_op 0
		.amdhsa_exception_fp_denorm_src 0
		.amdhsa_exception_fp_ieee_div_zero 0
		.amdhsa_exception_fp_ieee_overflow 0
		.amdhsa_exception_fp_ieee_underflow 0
		.amdhsa_exception_fp_ieee_inexact 0
		.amdhsa_exception_int_div_zero 0
	.end_amdhsa_kernel
	.section	.text._ZN7rocprim17ROCPRIM_400000_NS6detail17trampoline_kernelINS0_14default_configENS1_29reduce_by_key_config_selectorIiiN6thrust23THRUST_200600_302600_NS4plusIiEEEEZZNS1_33reduce_by_key_impl_wrapped_configILNS1_25lookback_scan_determinismE0ES3_S9_NS6_18transform_iteratorI25linear_index_to_row_indexIiENS6_17counting_iteratorIiNS6_11use_defaultESG_SG_EESG_SG_EENS6_6detail15normal_iteratorINS6_10device_ptrIiEEEESN_SN_PmS8_NS6_8equal_toIiEEEE10hipError_tPvRmT2_T3_mT4_T5_T6_T7_T8_P12ihipStream_tbENKUlT_T0_E_clISt17integral_constantIbLb0EES17_IbLb1EEEEDaS13_S14_EUlS13_E_NS1_11comp_targetILNS1_3genE2ELNS1_11target_archE906ELNS1_3gpuE6ELNS1_3repE0EEENS1_30default_config_static_selectorELNS0_4arch9wavefront6targetE0EEEvT1_,"axG",@progbits,_ZN7rocprim17ROCPRIM_400000_NS6detail17trampoline_kernelINS0_14default_configENS1_29reduce_by_key_config_selectorIiiN6thrust23THRUST_200600_302600_NS4plusIiEEEEZZNS1_33reduce_by_key_impl_wrapped_configILNS1_25lookback_scan_determinismE0ES3_S9_NS6_18transform_iteratorI25linear_index_to_row_indexIiENS6_17counting_iteratorIiNS6_11use_defaultESG_SG_EESG_SG_EENS6_6detail15normal_iteratorINS6_10device_ptrIiEEEESN_SN_PmS8_NS6_8equal_toIiEEEE10hipError_tPvRmT2_T3_mT4_T5_T6_T7_T8_P12ihipStream_tbENKUlT_T0_E_clISt17integral_constantIbLb0EES17_IbLb1EEEEDaS13_S14_EUlS13_E_NS1_11comp_targetILNS1_3genE2ELNS1_11target_archE906ELNS1_3gpuE6ELNS1_3repE0EEENS1_30default_config_static_selectorELNS0_4arch9wavefront6targetE0EEEvT1_,comdat
.Lfunc_end45:
	.size	_ZN7rocprim17ROCPRIM_400000_NS6detail17trampoline_kernelINS0_14default_configENS1_29reduce_by_key_config_selectorIiiN6thrust23THRUST_200600_302600_NS4plusIiEEEEZZNS1_33reduce_by_key_impl_wrapped_configILNS1_25lookback_scan_determinismE0ES3_S9_NS6_18transform_iteratorI25linear_index_to_row_indexIiENS6_17counting_iteratorIiNS6_11use_defaultESG_SG_EESG_SG_EENS6_6detail15normal_iteratorINS6_10device_ptrIiEEEESN_SN_PmS8_NS6_8equal_toIiEEEE10hipError_tPvRmT2_T3_mT4_T5_T6_T7_T8_P12ihipStream_tbENKUlT_T0_E_clISt17integral_constantIbLb0EES17_IbLb1EEEEDaS13_S14_EUlS13_E_NS1_11comp_targetILNS1_3genE2ELNS1_11target_archE906ELNS1_3gpuE6ELNS1_3repE0EEENS1_30default_config_static_selectorELNS0_4arch9wavefront6targetE0EEEvT1_, .Lfunc_end45-_ZN7rocprim17ROCPRIM_400000_NS6detail17trampoline_kernelINS0_14default_configENS1_29reduce_by_key_config_selectorIiiN6thrust23THRUST_200600_302600_NS4plusIiEEEEZZNS1_33reduce_by_key_impl_wrapped_configILNS1_25lookback_scan_determinismE0ES3_S9_NS6_18transform_iteratorI25linear_index_to_row_indexIiENS6_17counting_iteratorIiNS6_11use_defaultESG_SG_EESG_SG_EENS6_6detail15normal_iteratorINS6_10device_ptrIiEEEESN_SN_PmS8_NS6_8equal_toIiEEEE10hipError_tPvRmT2_T3_mT4_T5_T6_T7_T8_P12ihipStream_tbENKUlT_T0_E_clISt17integral_constantIbLb0EES17_IbLb1EEEEDaS13_S14_EUlS13_E_NS1_11comp_targetILNS1_3genE2ELNS1_11target_archE906ELNS1_3gpuE6ELNS1_3repE0EEENS1_30default_config_static_selectorELNS0_4arch9wavefront6targetE0EEEvT1_
                                        ; -- End function
	.set _ZN7rocprim17ROCPRIM_400000_NS6detail17trampoline_kernelINS0_14default_configENS1_29reduce_by_key_config_selectorIiiN6thrust23THRUST_200600_302600_NS4plusIiEEEEZZNS1_33reduce_by_key_impl_wrapped_configILNS1_25lookback_scan_determinismE0ES3_S9_NS6_18transform_iteratorI25linear_index_to_row_indexIiENS6_17counting_iteratorIiNS6_11use_defaultESG_SG_EESG_SG_EENS6_6detail15normal_iteratorINS6_10device_ptrIiEEEESN_SN_PmS8_NS6_8equal_toIiEEEE10hipError_tPvRmT2_T3_mT4_T5_T6_T7_T8_P12ihipStream_tbENKUlT_T0_E_clISt17integral_constantIbLb0EES17_IbLb1EEEEDaS13_S14_EUlS13_E_NS1_11comp_targetILNS1_3genE2ELNS1_11target_archE906ELNS1_3gpuE6ELNS1_3repE0EEENS1_30default_config_static_selectorELNS0_4arch9wavefront6targetE0EEEvT1_.num_vgpr, 0
	.set _ZN7rocprim17ROCPRIM_400000_NS6detail17trampoline_kernelINS0_14default_configENS1_29reduce_by_key_config_selectorIiiN6thrust23THRUST_200600_302600_NS4plusIiEEEEZZNS1_33reduce_by_key_impl_wrapped_configILNS1_25lookback_scan_determinismE0ES3_S9_NS6_18transform_iteratorI25linear_index_to_row_indexIiENS6_17counting_iteratorIiNS6_11use_defaultESG_SG_EESG_SG_EENS6_6detail15normal_iteratorINS6_10device_ptrIiEEEESN_SN_PmS8_NS6_8equal_toIiEEEE10hipError_tPvRmT2_T3_mT4_T5_T6_T7_T8_P12ihipStream_tbENKUlT_T0_E_clISt17integral_constantIbLb0EES17_IbLb1EEEEDaS13_S14_EUlS13_E_NS1_11comp_targetILNS1_3genE2ELNS1_11target_archE906ELNS1_3gpuE6ELNS1_3repE0EEENS1_30default_config_static_selectorELNS0_4arch9wavefront6targetE0EEEvT1_.num_agpr, 0
	.set _ZN7rocprim17ROCPRIM_400000_NS6detail17trampoline_kernelINS0_14default_configENS1_29reduce_by_key_config_selectorIiiN6thrust23THRUST_200600_302600_NS4plusIiEEEEZZNS1_33reduce_by_key_impl_wrapped_configILNS1_25lookback_scan_determinismE0ES3_S9_NS6_18transform_iteratorI25linear_index_to_row_indexIiENS6_17counting_iteratorIiNS6_11use_defaultESG_SG_EESG_SG_EENS6_6detail15normal_iteratorINS6_10device_ptrIiEEEESN_SN_PmS8_NS6_8equal_toIiEEEE10hipError_tPvRmT2_T3_mT4_T5_T6_T7_T8_P12ihipStream_tbENKUlT_T0_E_clISt17integral_constantIbLb0EES17_IbLb1EEEEDaS13_S14_EUlS13_E_NS1_11comp_targetILNS1_3genE2ELNS1_11target_archE906ELNS1_3gpuE6ELNS1_3repE0EEENS1_30default_config_static_selectorELNS0_4arch9wavefront6targetE0EEEvT1_.numbered_sgpr, 0
	.set _ZN7rocprim17ROCPRIM_400000_NS6detail17trampoline_kernelINS0_14default_configENS1_29reduce_by_key_config_selectorIiiN6thrust23THRUST_200600_302600_NS4plusIiEEEEZZNS1_33reduce_by_key_impl_wrapped_configILNS1_25lookback_scan_determinismE0ES3_S9_NS6_18transform_iteratorI25linear_index_to_row_indexIiENS6_17counting_iteratorIiNS6_11use_defaultESG_SG_EESG_SG_EENS6_6detail15normal_iteratorINS6_10device_ptrIiEEEESN_SN_PmS8_NS6_8equal_toIiEEEE10hipError_tPvRmT2_T3_mT4_T5_T6_T7_T8_P12ihipStream_tbENKUlT_T0_E_clISt17integral_constantIbLb0EES17_IbLb1EEEEDaS13_S14_EUlS13_E_NS1_11comp_targetILNS1_3genE2ELNS1_11target_archE906ELNS1_3gpuE6ELNS1_3repE0EEENS1_30default_config_static_selectorELNS0_4arch9wavefront6targetE0EEEvT1_.num_named_barrier, 0
	.set _ZN7rocprim17ROCPRIM_400000_NS6detail17trampoline_kernelINS0_14default_configENS1_29reduce_by_key_config_selectorIiiN6thrust23THRUST_200600_302600_NS4plusIiEEEEZZNS1_33reduce_by_key_impl_wrapped_configILNS1_25lookback_scan_determinismE0ES3_S9_NS6_18transform_iteratorI25linear_index_to_row_indexIiENS6_17counting_iteratorIiNS6_11use_defaultESG_SG_EESG_SG_EENS6_6detail15normal_iteratorINS6_10device_ptrIiEEEESN_SN_PmS8_NS6_8equal_toIiEEEE10hipError_tPvRmT2_T3_mT4_T5_T6_T7_T8_P12ihipStream_tbENKUlT_T0_E_clISt17integral_constantIbLb0EES17_IbLb1EEEEDaS13_S14_EUlS13_E_NS1_11comp_targetILNS1_3genE2ELNS1_11target_archE906ELNS1_3gpuE6ELNS1_3repE0EEENS1_30default_config_static_selectorELNS0_4arch9wavefront6targetE0EEEvT1_.private_seg_size, 0
	.set _ZN7rocprim17ROCPRIM_400000_NS6detail17trampoline_kernelINS0_14default_configENS1_29reduce_by_key_config_selectorIiiN6thrust23THRUST_200600_302600_NS4plusIiEEEEZZNS1_33reduce_by_key_impl_wrapped_configILNS1_25lookback_scan_determinismE0ES3_S9_NS6_18transform_iteratorI25linear_index_to_row_indexIiENS6_17counting_iteratorIiNS6_11use_defaultESG_SG_EESG_SG_EENS6_6detail15normal_iteratorINS6_10device_ptrIiEEEESN_SN_PmS8_NS6_8equal_toIiEEEE10hipError_tPvRmT2_T3_mT4_T5_T6_T7_T8_P12ihipStream_tbENKUlT_T0_E_clISt17integral_constantIbLb0EES17_IbLb1EEEEDaS13_S14_EUlS13_E_NS1_11comp_targetILNS1_3genE2ELNS1_11target_archE906ELNS1_3gpuE6ELNS1_3repE0EEENS1_30default_config_static_selectorELNS0_4arch9wavefront6targetE0EEEvT1_.uses_vcc, 0
	.set _ZN7rocprim17ROCPRIM_400000_NS6detail17trampoline_kernelINS0_14default_configENS1_29reduce_by_key_config_selectorIiiN6thrust23THRUST_200600_302600_NS4plusIiEEEEZZNS1_33reduce_by_key_impl_wrapped_configILNS1_25lookback_scan_determinismE0ES3_S9_NS6_18transform_iteratorI25linear_index_to_row_indexIiENS6_17counting_iteratorIiNS6_11use_defaultESG_SG_EESG_SG_EENS6_6detail15normal_iteratorINS6_10device_ptrIiEEEESN_SN_PmS8_NS6_8equal_toIiEEEE10hipError_tPvRmT2_T3_mT4_T5_T6_T7_T8_P12ihipStream_tbENKUlT_T0_E_clISt17integral_constantIbLb0EES17_IbLb1EEEEDaS13_S14_EUlS13_E_NS1_11comp_targetILNS1_3genE2ELNS1_11target_archE906ELNS1_3gpuE6ELNS1_3repE0EEENS1_30default_config_static_selectorELNS0_4arch9wavefront6targetE0EEEvT1_.uses_flat_scratch, 0
	.set _ZN7rocprim17ROCPRIM_400000_NS6detail17trampoline_kernelINS0_14default_configENS1_29reduce_by_key_config_selectorIiiN6thrust23THRUST_200600_302600_NS4plusIiEEEEZZNS1_33reduce_by_key_impl_wrapped_configILNS1_25lookback_scan_determinismE0ES3_S9_NS6_18transform_iteratorI25linear_index_to_row_indexIiENS6_17counting_iteratorIiNS6_11use_defaultESG_SG_EESG_SG_EENS6_6detail15normal_iteratorINS6_10device_ptrIiEEEESN_SN_PmS8_NS6_8equal_toIiEEEE10hipError_tPvRmT2_T3_mT4_T5_T6_T7_T8_P12ihipStream_tbENKUlT_T0_E_clISt17integral_constantIbLb0EES17_IbLb1EEEEDaS13_S14_EUlS13_E_NS1_11comp_targetILNS1_3genE2ELNS1_11target_archE906ELNS1_3gpuE6ELNS1_3repE0EEENS1_30default_config_static_selectorELNS0_4arch9wavefront6targetE0EEEvT1_.has_dyn_sized_stack, 0
	.set _ZN7rocprim17ROCPRIM_400000_NS6detail17trampoline_kernelINS0_14default_configENS1_29reduce_by_key_config_selectorIiiN6thrust23THRUST_200600_302600_NS4plusIiEEEEZZNS1_33reduce_by_key_impl_wrapped_configILNS1_25lookback_scan_determinismE0ES3_S9_NS6_18transform_iteratorI25linear_index_to_row_indexIiENS6_17counting_iteratorIiNS6_11use_defaultESG_SG_EESG_SG_EENS6_6detail15normal_iteratorINS6_10device_ptrIiEEEESN_SN_PmS8_NS6_8equal_toIiEEEE10hipError_tPvRmT2_T3_mT4_T5_T6_T7_T8_P12ihipStream_tbENKUlT_T0_E_clISt17integral_constantIbLb0EES17_IbLb1EEEEDaS13_S14_EUlS13_E_NS1_11comp_targetILNS1_3genE2ELNS1_11target_archE906ELNS1_3gpuE6ELNS1_3repE0EEENS1_30default_config_static_selectorELNS0_4arch9wavefront6targetE0EEEvT1_.has_recursion, 0
	.set _ZN7rocprim17ROCPRIM_400000_NS6detail17trampoline_kernelINS0_14default_configENS1_29reduce_by_key_config_selectorIiiN6thrust23THRUST_200600_302600_NS4plusIiEEEEZZNS1_33reduce_by_key_impl_wrapped_configILNS1_25lookback_scan_determinismE0ES3_S9_NS6_18transform_iteratorI25linear_index_to_row_indexIiENS6_17counting_iteratorIiNS6_11use_defaultESG_SG_EESG_SG_EENS6_6detail15normal_iteratorINS6_10device_ptrIiEEEESN_SN_PmS8_NS6_8equal_toIiEEEE10hipError_tPvRmT2_T3_mT4_T5_T6_T7_T8_P12ihipStream_tbENKUlT_T0_E_clISt17integral_constantIbLb0EES17_IbLb1EEEEDaS13_S14_EUlS13_E_NS1_11comp_targetILNS1_3genE2ELNS1_11target_archE906ELNS1_3gpuE6ELNS1_3repE0EEENS1_30default_config_static_selectorELNS0_4arch9wavefront6targetE0EEEvT1_.has_indirect_call, 0
	.section	.AMDGPU.csdata,"",@progbits
; Kernel info:
; codeLenInByte = 0
; TotalNumSgprs: 0
; NumVgprs: 0
; ScratchSize: 0
; MemoryBound: 0
; FloatMode: 240
; IeeeMode: 1
; LDSByteSize: 0 bytes/workgroup (compile time only)
; SGPRBlocks: 0
; VGPRBlocks: 0
; NumSGPRsForWavesPerEU: 1
; NumVGPRsForWavesPerEU: 1
; Occupancy: 16
; WaveLimiterHint : 0
; COMPUTE_PGM_RSRC2:SCRATCH_EN: 0
; COMPUTE_PGM_RSRC2:USER_SGPR: 6
; COMPUTE_PGM_RSRC2:TRAP_HANDLER: 0
; COMPUTE_PGM_RSRC2:TGID_X_EN: 1
; COMPUTE_PGM_RSRC2:TGID_Y_EN: 0
; COMPUTE_PGM_RSRC2:TGID_Z_EN: 0
; COMPUTE_PGM_RSRC2:TIDIG_COMP_CNT: 0
	.section	.text._ZN7rocprim17ROCPRIM_400000_NS6detail17trampoline_kernelINS0_14default_configENS1_29reduce_by_key_config_selectorIiiN6thrust23THRUST_200600_302600_NS4plusIiEEEEZZNS1_33reduce_by_key_impl_wrapped_configILNS1_25lookback_scan_determinismE0ES3_S9_NS6_18transform_iteratorI25linear_index_to_row_indexIiENS6_17counting_iteratorIiNS6_11use_defaultESG_SG_EESG_SG_EENS6_6detail15normal_iteratorINS6_10device_ptrIiEEEESN_SN_PmS8_NS6_8equal_toIiEEEE10hipError_tPvRmT2_T3_mT4_T5_T6_T7_T8_P12ihipStream_tbENKUlT_T0_E_clISt17integral_constantIbLb0EES17_IbLb1EEEEDaS13_S14_EUlS13_E_NS1_11comp_targetILNS1_3genE10ELNS1_11target_archE1201ELNS1_3gpuE5ELNS1_3repE0EEENS1_30default_config_static_selectorELNS0_4arch9wavefront6targetE0EEEvT1_,"axG",@progbits,_ZN7rocprim17ROCPRIM_400000_NS6detail17trampoline_kernelINS0_14default_configENS1_29reduce_by_key_config_selectorIiiN6thrust23THRUST_200600_302600_NS4plusIiEEEEZZNS1_33reduce_by_key_impl_wrapped_configILNS1_25lookback_scan_determinismE0ES3_S9_NS6_18transform_iteratorI25linear_index_to_row_indexIiENS6_17counting_iteratorIiNS6_11use_defaultESG_SG_EESG_SG_EENS6_6detail15normal_iteratorINS6_10device_ptrIiEEEESN_SN_PmS8_NS6_8equal_toIiEEEE10hipError_tPvRmT2_T3_mT4_T5_T6_T7_T8_P12ihipStream_tbENKUlT_T0_E_clISt17integral_constantIbLb0EES17_IbLb1EEEEDaS13_S14_EUlS13_E_NS1_11comp_targetILNS1_3genE10ELNS1_11target_archE1201ELNS1_3gpuE5ELNS1_3repE0EEENS1_30default_config_static_selectorELNS0_4arch9wavefront6targetE0EEEvT1_,comdat
	.protected	_ZN7rocprim17ROCPRIM_400000_NS6detail17trampoline_kernelINS0_14default_configENS1_29reduce_by_key_config_selectorIiiN6thrust23THRUST_200600_302600_NS4plusIiEEEEZZNS1_33reduce_by_key_impl_wrapped_configILNS1_25lookback_scan_determinismE0ES3_S9_NS6_18transform_iteratorI25linear_index_to_row_indexIiENS6_17counting_iteratorIiNS6_11use_defaultESG_SG_EESG_SG_EENS6_6detail15normal_iteratorINS6_10device_ptrIiEEEESN_SN_PmS8_NS6_8equal_toIiEEEE10hipError_tPvRmT2_T3_mT4_T5_T6_T7_T8_P12ihipStream_tbENKUlT_T0_E_clISt17integral_constantIbLb0EES17_IbLb1EEEEDaS13_S14_EUlS13_E_NS1_11comp_targetILNS1_3genE10ELNS1_11target_archE1201ELNS1_3gpuE5ELNS1_3repE0EEENS1_30default_config_static_selectorELNS0_4arch9wavefront6targetE0EEEvT1_ ; -- Begin function _ZN7rocprim17ROCPRIM_400000_NS6detail17trampoline_kernelINS0_14default_configENS1_29reduce_by_key_config_selectorIiiN6thrust23THRUST_200600_302600_NS4plusIiEEEEZZNS1_33reduce_by_key_impl_wrapped_configILNS1_25lookback_scan_determinismE0ES3_S9_NS6_18transform_iteratorI25linear_index_to_row_indexIiENS6_17counting_iteratorIiNS6_11use_defaultESG_SG_EESG_SG_EENS6_6detail15normal_iteratorINS6_10device_ptrIiEEEESN_SN_PmS8_NS6_8equal_toIiEEEE10hipError_tPvRmT2_T3_mT4_T5_T6_T7_T8_P12ihipStream_tbENKUlT_T0_E_clISt17integral_constantIbLb0EES17_IbLb1EEEEDaS13_S14_EUlS13_E_NS1_11comp_targetILNS1_3genE10ELNS1_11target_archE1201ELNS1_3gpuE5ELNS1_3repE0EEENS1_30default_config_static_selectorELNS0_4arch9wavefront6targetE0EEEvT1_
	.globl	_ZN7rocprim17ROCPRIM_400000_NS6detail17trampoline_kernelINS0_14default_configENS1_29reduce_by_key_config_selectorIiiN6thrust23THRUST_200600_302600_NS4plusIiEEEEZZNS1_33reduce_by_key_impl_wrapped_configILNS1_25lookback_scan_determinismE0ES3_S9_NS6_18transform_iteratorI25linear_index_to_row_indexIiENS6_17counting_iteratorIiNS6_11use_defaultESG_SG_EESG_SG_EENS6_6detail15normal_iteratorINS6_10device_ptrIiEEEESN_SN_PmS8_NS6_8equal_toIiEEEE10hipError_tPvRmT2_T3_mT4_T5_T6_T7_T8_P12ihipStream_tbENKUlT_T0_E_clISt17integral_constantIbLb0EES17_IbLb1EEEEDaS13_S14_EUlS13_E_NS1_11comp_targetILNS1_3genE10ELNS1_11target_archE1201ELNS1_3gpuE5ELNS1_3repE0EEENS1_30default_config_static_selectorELNS0_4arch9wavefront6targetE0EEEvT1_
	.p2align	8
	.type	_ZN7rocprim17ROCPRIM_400000_NS6detail17trampoline_kernelINS0_14default_configENS1_29reduce_by_key_config_selectorIiiN6thrust23THRUST_200600_302600_NS4plusIiEEEEZZNS1_33reduce_by_key_impl_wrapped_configILNS1_25lookback_scan_determinismE0ES3_S9_NS6_18transform_iteratorI25linear_index_to_row_indexIiENS6_17counting_iteratorIiNS6_11use_defaultESG_SG_EESG_SG_EENS6_6detail15normal_iteratorINS6_10device_ptrIiEEEESN_SN_PmS8_NS6_8equal_toIiEEEE10hipError_tPvRmT2_T3_mT4_T5_T6_T7_T8_P12ihipStream_tbENKUlT_T0_E_clISt17integral_constantIbLb0EES17_IbLb1EEEEDaS13_S14_EUlS13_E_NS1_11comp_targetILNS1_3genE10ELNS1_11target_archE1201ELNS1_3gpuE5ELNS1_3repE0EEENS1_30default_config_static_selectorELNS0_4arch9wavefront6targetE0EEEvT1_,@function
_ZN7rocprim17ROCPRIM_400000_NS6detail17trampoline_kernelINS0_14default_configENS1_29reduce_by_key_config_selectorIiiN6thrust23THRUST_200600_302600_NS4plusIiEEEEZZNS1_33reduce_by_key_impl_wrapped_configILNS1_25lookback_scan_determinismE0ES3_S9_NS6_18transform_iteratorI25linear_index_to_row_indexIiENS6_17counting_iteratorIiNS6_11use_defaultESG_SG_EESG_SG_EENS6_6detail15normal_iteratorINS6_10device_ptrIiEEEESN_SN_PmS8_NS6_8equal_toIiEEEE10hipError_tPvRmT2_T3_mT4_T5_T6_T7_T8_P12ihipStream_tbENKUlT_T0_E_clISt17integral_constantIbLb0EES17_IbLb1EEEEDaS13_S14_EUlS13_E_NS1_11comp_targetILNS1_3genE10ELNS1_11target_archE1201ELNS1_3gpuE5ELNS1_3repE0EEENS1_30default_config_static_selectorELNS0_4arch9wavefront6targetE0EEEvT1_: ; @_ZN7rocprim17ROCPRIM_400000_NS6detail17trampoline_kernelINS0_14default_configENS1_29reduce_by_key_config_selectorIiiN6thrust23THRUST_200600_302600_NS4plusIiEEEEZZNS1_33reduce_by_key_impl_wrapped_configILNS1_25lookback_scan_determinismE0ES3_S9_NS6_18transform_iteratorI25linear_index_to_row_indexIiENS6_17counting_iteratorIiNS6_11use_defaultESG_SG_EESG_SG_EENS6_6detail15normal_iteratorINS6_10device_ptrIiEEEESN_SN_PmS8_NS6_8equal_toIiEEEE10hipError_tPvRmT2_T3_mT4_T5_T6_T7_T8_P12ihipStream_tbENKUlT_T0_E_clISt17integral_constantIbLb0EES17_IbLb1EEEEDaS13_S14_EUlS13_E_NS1_11comp_targetILNS1_3genE10ELNS1_11target_archE1201ELNS1_3gpuE5ELNS1_3repE0EEENS1_30default_config_static_selectorELNS0_4arch9wavefront6targetE0EEEvT1_
; %bb.0:
	.section	.rodata,"a",@progbits
	.p2align	6, 0x0
	.amdhsa_kernel _ZN7rocprim17ROCPRIM_400000_NS6detail17trampoline_kernelINS0_14default_configENS1_29reduce_by_key_config_selectorIiiN6thrust23THRUST_200600_302600_NS4plusIiEEEEZZNS1_33reduce_by_key_impl_wrapped_configILNS1_25lookback_scan_determinismE0ES3_S9_NS6_18transform_iteratorI25linear_index_to_row_indexIiENS6_17counting_iteratorIiNS6_11use_defaultESG_SG_EESG_SG_EENS6_6detail15normal_iteratorINS6_10device_ptrIiEEEESN_SN_PmS8_NS6_8equal_toIiEEEE10hipError_tPvRmT2_T3_mT4_T5_T6_T7_T8_P12ihipStream_tbENKUlT_T0_E_clISt17integral_constantIbLb0EES17_IbLb1EEEEDaS13_S14_EUlS13_E_NS1_11comp_targetILNS1_3genE10ELNS1_11target_archE1201ELNS1_3gpuE5ELNS1_3repE0EEENS1_30default_config_static_selectorELNS0_4arch9wavefront6targetE0EEEvT1_
		.amdhsa_group_segment_fixed_size 0
		.amdhsa_private_segment_fixed_size 0
		.amdhsa_kernarg_size 120
		.amdhsa_user_sgpr_count 6
		.amdhsa_user_sgpr_private_segment_buffer 1
		.amdhsa_user_sgpr_dispatch_ptr 0
		.amdhsa_user_sgpr_queue_ptr 0
		.amdhsa_user_sgpr_kernarg_segment_ptr 1
		.amdhsa_user_sgpr_dispatch_id 0
		.amdhsa_user_sgpr_flat_scratch_init 0
		.amdhsa_user_sgpr_private_segment_size 0
		.amdhsa_wavefront_size32 1
		.amdhsa_uses_dynamic_stack 0
		.amdhsa_system_sgpr_private_segment_wavefront_offset 0
		.amdhsa_system_sgpr_workgroup_id_x 1
		.amdhsa_system_sgpr_workgroup_id_y 0
		.amdhsa_system_sgpr_workgroup_id_z 0
		.amdhsa_system_sgpr_workgroup_info 0
		.amdhsa_system_vgpr_workitem_id 0
		.amdhsa_next_free_vgpr 1
		.amdhsa_next_free_sgpr 1
		.amdhsa_reserve_vcc 0
		.amdhsa_reserve_flat_scratch 0
		.amdhsa_float_round_mode_32 0
		.amdhsa_float_round_mode_16_64 0
		.amdhsa_float_denorm_mode_32 3
		.amdhsa_float_denorm_mode_16_64 3
		.amdhsa_dx10_clamp 1
		.amdhsa_ieee_mode 1
		.amdhsa_fp16_overflow 0
		.amdhsa_workgroup_processor_mode 1
		.amdhsa_memory_ordered 1
		.amdhsa_forward_progress 1
		.amdhsa_shared_vgpr_count 0
		.amdhsa_exception_fp_ieee_invalid_op 0
		.amdhsa_exception_fp_denorm_src 0
		.amdhsa_exception_fp_ieee_div_zero 0
		.amdhsa_exception_fp_ieee_overflow 0
		.amdhsa_exception_fp_ieee_underflow 0
		.amdhsa_exception_fp_ieee_inexact 0
		.amdhsa_exception_int_div_zero 0
	.end_amdhsa_kernel
	.section	.text._ZN7rocprim17ROCPRIM_400000_NS6detail17trampoline_kernelINS0_14default_configENS1_29reduce_by_key_config_selectorIiiN6thrust23THRUST_200600_302600_NS4plusIiEEEEZZNS1_33reduce_by_key_impl_wrapped_configILNS1_25lookback_scan_determinismE0ES3_S9_NS6_18transform_iteratorI25linear_index_to_row_indexIiENS6_17counting_iteratorIiNS6_11use_defaultESG_SG_EESG_SG_EENS6_6detail15normal_iteratorINS6_10device_ptrIiEEEESN_SN_PmS8_NS6_8equal_toIiEEEE10hipError_tPvRmT2_T3_mT4_T5_T6_T7_T8_P12ihipStream_tbENKUlT_T0_E_clISt17integral_constantIbLb0EES17_IbLb1EEEEDaS13_S14_EUlS13_E_NS1_11comp_targetILNS1_3genE10ELNS1_11target_archE1201ELNS1_3gpuE5ELNS1_3repE0EEENS1_30default_config_static_selectorELNS0_4arch9wavefront6targetE0EEEvT1_,"axG",@progbits,_ZN7rocprim17ROCPRIM_400000_NS6detail17trampoline_kernelINS0_14default_configENS1_29reduce_by_key_config_selectorIiiN6thrust23THRUST_200600_302600_NS4plusIiEEEEZZNS1_33reduce_by_key_impl_wrapped_configILNS1_25lookback_scan_determinismE0ES3_S9_NS6_18transform_iteratorI25linear_index_to_row_indexIiENS6_17counting_iteratorIiNS6_11use_defaultESG_SG_EESG_SG_EENS6_6detail15normal_iteratorINS6_10device_ptrIiEEEESN_SN_PmS8_NS6_8equal_toIiEEEE10hipError_tPvRmT2_T3_mT4_T5_T6_T7_T8_P12ihipStream_tbENKUlT_T0_E_clISt17integral_constantIbLb0EES17_IbLb1EEEEDaS13_S14_EUlS13_E_NS1_11comp_targetILNS1_3genE10ELNS1_11target_archE1201ELNS1_3gpuE5ELNS1_3repE0EEENS1_30default_config_static_selectorELNS0_4arch9wavefront6targetE0EEEvT1_,comdat
.Lfunc_end46:
	.size	_ZN7rocprim17ROCPRIM_400000_NS6detail17trampoline_kernelINS0_14default_configENS1_29reduce_by_key_config_selectorIiiN6thrust23THRUST_200600_302600_NS4plusIiEEEEZZNS1_33reduce_by_key_impl_wrapped_configILNS1_25lookback_scan_determinismE0ES3_S9_NS6_18transform_iteratorI25linear_index_to_row_indexIiENS6_17counting_iteratorIiNS6_11use_defaultESG_SG_EESG_SG_EENS6_6detail15normal_iteratorINS6_10device_ptrIiEEEESN_SN_PmS8_NS6_8equal_toIiEEEE10hipError_tPvRmT2_T3_mT4_T5_T6_T7_T8_P12ihipStream_tbENKUlT_T0_E_clISt17integral_constantIbLb0EES17_IbLb1EEEEDaS13_S14_EUlS13_E_NS1_11comp_targetILNS1_3genE10ELNS1_11target_archE1201ELNS1_3gpuE5ELNS1_3repE0EEENS1_30default_config_static_selectorELNS0_4arch9wavefront6targetE0EEEvT1_, .Lfunc_end46-_ZN7rocprim17ROCPRIM_400000_NS6detail17trampoline_kernelINS0_14default_configENS1_29reduce_by_key_config_selectorIiiN6thrust23THRUST_200600_302600_NS4plusIiEEEEZZNS1_33reduce_by_key_impl_wrapped_configILNS1_25lookback_scan_determinismE0ES3_S9_NS6_18transform_iteratorI25linear_index_to_row_indexIiENS6_17counting_iteratorIiNS6_11use_defaultESG_SG_EESG_SG_EENS6_6detail15normal_iteratorINS6_10device_ptrIiEEEESN_SN_PmS8_NS6_8equal_toIiEEEE10hipError_tPvRmT2_T3_mT4_T5_T6_T7_T8_P12ihipStream_tbENKUlT_T0_E_clISt17integral_constantIbLb0EES17_IbLb1EEEEDaS13_S14_EUlS13_E_NS1_11comp_targetILNS1_3genE10ELNS1_11target_archE1201ELNS1_3gpuE5ELNS1_3repE0EEENS1_30default_config_static_selectorELNS0_4arch9wavefront6targetE0EEEvT1_
                                        ; -- End function
	.set _ZN7rocprim17ROCPRIM_400000_NS6detail17trampoline_kernelINS0_14default_configENS1_29reduce_by_key_config_selectorIiiN6thrust23THRUST_200600_302600_NS4plusIiEEEEZZNS1_33reduce_by_key_impl_wrapped_configILNS1_25lookback_scan_determinismE0ES3_S9_NS6_18transform_iteratorI25linear_index_to_row_indexIiENS6_17counting_iteratorIiNS6_11use_defaultESG_SG_EESG_SG_EENS6_6detail15normal_iteratorINS6_10device_ptrIiEEEESN_SN_PmS8_NS6_8equal_toIiEEEE10hipError_tPvRmT2_T3_mT4_T5_T6_T7_T8_P12ihipStream_tbENKUlT_T0_E_clISt17integral_constantIbLb0EES17_IbLb1EEEEDaS13_S14_EUlS13_E_NS1_11comp_targetILNS1_3genE10ELNS1_11target_archE1201ELNS1_3gpuE5ELNS1_3repE0EEENS1_30default_config_static_selectorELNS0_4arch9wavefront6targetE0EEEvT1_.num_vgpr, 0
	.set _ZN7rocprim17ROCPRIM_400000_NS6detail17trampoline_kernelINS0_14default_configENS1_29reduce_by_key_config_selectorIiiN6thrust23THRUST_200600_302600_NS4plusIiEEEEZZNS1_33reduce_by_key_impl_wrapped_configILNS1_25lookback_scan_determinismE0ES3_S9_NS6_18transform_iteratorI25linear_index_to_row_indexIiENS6_17counting_iteratorIiNS6_11use_defaultESG_SG_EESG_SG_EENS6_6detail15normal_iteratorINS6_10device_ptrIiEEEESN_SN_PmS8_NS6_8equal_toIiEEEE10hipError_tPvRmT2_T3_mT4_T5_T6_T7_T8_P12ihipStream_tbENKUlT_T0_E_clISt17integral_constantIbLb0EES17_IbLb1EEEEDaS13_S14_EUlS13_E_NS1_11comp_targetILNS1_3genE10ELNS1_11target_archE1201ELNS1_3gpuE5ELNS1_3repE0EEENS1_30default_config_static_selectorELNS0_4arch9wavefront6targetE0EEEvT1_.num_agpr, 0
	.set _ZN7rocprim17ROCPRIM_400000_NS6detail17trampoline_kernelINS0_14default_configENS1_29reduce_by_key_config_selectorIiiN6thrust23THRUST_200600_302600_NS4plusIiEEEEZZNS1_33reduce_by_key_impl_wrapped_configILNS1_25lookback_scan_determinismE0ES3_S9_NS6_18transform_iteratorI25linear_index_to_row_indexIiENS6_17counting_iteratorIiNS6_11use_defaultESG_SG_EESG_SG_EENS6_6detail15normal_iteratorINS6_10device_ptrIiEEEESN_SN_PmS8_NS6_8equal_toIiEEEE10hipError_tPvRmT2_T3_mT4_T5_T6_T7_T8_P12ihipStream_tbENKUlT_T0_E_clISt17integral_constantIbLb0EES17_IbLb1EEEEDaS13_S14_EUlS13_E_NS1_11comp_targetILNS1_3genE10ELNS1_11target_archE1201ELNS1_3gpuE5ELNS1_3repE0EEENS1_30default_config_static_selectorELNS0_4arch9wavefront6targetE0EEEvT1_.numbered_sgpr, 0
	.set _ZN7rocprim17ROCPRIM_400000_NS6detail17trampoline_kernelINS0_14default_configENS1_29reduce_by_key_config_selectorIiiN6thrust23THRUST_200600_302600_NS4plusIiEEEEZZNS1_33reduce_by_key_impl_wrapped_configILNS1_25lookback_scan_determinismE0ES3_S9_NS6_18transform_iteratorI25linear_index_to_row_indexIiENS6_17counting_iteratorIiNS6_11use_defaultESG_SG_EESG_SG_EENS6_6detail15normal_iteratorINS6_10device_ptrIiEEEESN_SN_PmS8_NS6_8equal_toIiEEEE10hipError_tPvRmT2_T3_mT4_T5_T6_T7_T8_P12ihipStream_tbENKUlT_T0_E_clISt17integral_constantIbLb0EES17_IbLb1EEEEDaS13_S14_EUlS13_E_NS1_11comp_targetILNS1_3genE10ELNS1_11target_archE1201ELNS1_3gpuE5ELNS1_3repE0EEENS1_30default_config_static_selectorELNS0_4arch9wavefront6targetE0EEEvT1_.num_named_barrier, 0
	.set _ZN7rocprim17ROCPRIM_400000_NS6detail17trampoline_kernelINS0_14default_configENS1_29reduce_by_key_config_selectorIiiN6thrust23THRUST_200600_302600_NS4plusIiEEEEZZNS1_33reduce_by_key_impl_wrapped_configILNS1_25lookback_scan_determinismE0ES3_S9_NS6_18transform_iteratorI25linear_index_to_row_indexIiENS6_17counting_iteratorIiNS6_11use_defaultESG_SG_EESG_SG_EENS6_6detail15normal_iteratorINS6_10device_ptrIiEEEESN_SN_PmS8_NS6_8equal_toIiEEEE10hipError_tPvRmT2_T3_mT4_T5_T6_T7_T8_P12ihipStream_tbENKUlT_T0_E_clISt17integral_constantIbLb0EES17_IbLb1EEEEDaS13_S14_EUlS13_E_NS1_11comp_targetILNS1_3genE10ELNS1_11target_archE1201ELNS1_3gpuE5ELNS1_3repE0EEENS1_30default_config_static_selectorELNS0_4arch9wavefront6targetE0EEEvT1_.private_seg_size, 0
	.set _ZN7rocprim17ROCPRIM_400000_NS6detail17trampoline_kernelINS0_14default_configENS1_29reduce_by_key_config_selectorIiiN6thrust23THRUST_200600_302600_NS4plusIiEEEEZZNS1_33reduce_by_key_impl_wrapped_configILNS1_25lookback_scan_determinismE0ES3_S9_NS6_18transform_iteratorI25linear_index_to_row_indexIiENS6_17counting_iteratorIiNS6_11use_defaultESG_SG_EESG_SG_EENS6_6detail15normal_iteratorINS6_10device_ptrIiEEEESN_SN_PmS8_NS6_8equal_toIiEEEE10hipError_tPvRmT2_T3_mT4_T5_T6_T7_T8_P12ihipStream_tbENKUlT_T0_E_clISt17integral_constantIbLb0EES17_IbLb1EEEEDaS13_S14_EUlS13_E_NS1_11comp_targetILNS1_3genE10ELNS1_11target_archE1201ELNS1_3gpuE5ELNS1_3repE0EEENS1_30default_config_static_selectorELNS0_4arch9wavefront6targetE0EEEvT1_.uses_vcc, 0
	.set _ZN7rocprim17ROCPRIM_400000_NS6detail17trampoline_kernelINS0_14default_configENS1_29reduce_by_key_config_selectorIiiN6thrust23THRUST_200600_302600_NS4plusIiEEEEZZNS1_33reduce_by_key_impl_wrapped_configILNS1_25lookback_scan_determinismE0ES3_S9_NS6_18transform_iteratorI25linear_index_to_row_indexIiENS6_17counting_iteratorIiNS6_11use_defaultESG_SG_EESG_SG_EENS6_6detail15normal_iteratorINS6_10device_ptrIiEEEESN_SN_PmS8_NS6_8equal_toIiEEEE10hipError_tPvRmT2_T3_mT4_T5_T6_T7_T8_P12ihipStream_tbENKUlT_T0_E_clISt17integral_constantIbLb0EES17_IbLb1EEEEDaS13_S14_EUlS13_E_NS1_11comp_targetILNS1_3genE10ELNS1_11target_archE1201ELNS1_3gpuE5ELNS1_3repE0EEENS1_30default_config_static_selectorELNS0_4arch9wavefront6targetE0EEEvT1_.uses_flat_scratch, 0
	.set _ZN7rocprim17ROCPRIM_400000_NS6detail17trampoline_kernelINS0_14default_configENS1_29reduce_by_key_config_selectorIiiN6thrust23THRUST_200600_302600_NS4plusIiEEEEZZNS1_33reduce_by_key_impl_wrapped_configILNS1_25lookback_scan_determinismE0ES3_S9_NS6_18transform_iteratorI25linear_index_to_row_indexIiENS6_17counting_iteratorIiNS6_11use_defaultESG_SG_EESG_SG_EENS6_6detail15normal_iteratorINS6_10device_ptrIiEEEESN_SN_PmS8_NS6_8equal_toIiEEEE10hipError_tPvRmT2_T3_mT4_T5_T6_T7_T8_P12ihipStream_tbENKUlT_T0_E_clISt17integral_constantIbLb0EES17_IbLb1EEEEDaS13_S14_EUlS13_E_NS1_11comp_targetILNS1_3genE10ELNS1_11target_archE1201ELNS1_3gpuE5ELNS1_3repE0EEENS1_30default_config_static_selectorELNS0_4arch9wavefront6targetE0EEEvT1_.has_dyn_sized_stack, 0
	.set _ZN7rocprim17ROCPRIM_400000_NS6detail17trampoline_kernelINS0_14default_configENS1_29reduce_by_key_config_selectorIiiN6thrust23THRUST_200600_302600_NS4plusIiEEEEZZNS1_33reduce_by_key_impl_wrapped_configILNS1_25lookback_scan_determinismE0ES3_S9_NS6_18transform_iteratorI25linear_index_to_row_indexIiENS6_17counting_iteratorIiNS6_11use_defaultESG_SG_EESG_SG_EENS6_6detail15normal_iteratorINS6_10device_ptrIiEEEESN_SN_PmS8_NS6_8equal_toIiEEEE10hipError_tPvRmT2_T3_mT4_T5_T6_T7_T8_P12ihipStream_tbENKUlT_T0_E_clISt17integral_constantIbLb0EES17_IbLb1EEEEDaS13_S14_EUlS13_E_NS1_11comp_targetILNS1_3genE10ELNS1_11target_archE1201ELNS1_3gpuE5ELNS1_3repE0EEENS1_30default_config_static_selectorELNS0_4arch9wavefront6targetE0EEEvT1_.has_recursion, 0
	.set _ZN7rocprim17ROCPRIM_400000_NS6detail17trampoline_kernelINS0_14default_configENS1_29reduce_by_key_config_selectorIiiN6thrust23THRUST_200600_302600_NS4plusIiEEEEZZNS1_33reduce_by_key_impl_wrapped_configILNS1_25lookback_scan_determinismE0ES3_S9_NS6_18transform_iteratorI25linear_index_to_row_indexIiENS6_17counting_iteratorIiNS6_11use_defaultESG_SG_EESG_SG_EENS6_6detail15normal_iteratorINS6_10device_ptrIiEEEESN_SN_PmS8_NS6_8equal_toIiEEEE10hipError_tPvRmT2_T3_mT4_T5_T6_T7_T8_P12ihipStream_tbENKUlT_T0_E_clISt17integral_constantIbLb0EES17_IbLb1EEEEDaS13_S14_EUlS13_E_NS1_11comp_targetILNS1_3genE10ELNS1_11target_archE1201ELNS1_3gpuE5ELNS1_3repE0EEENS1_30default_config_static_selectorELNS0_4arch9wavefront6targetE0EEEvT1_.has_indirect_call, 0
	.section	.AMDGPU.csdata,"",@progbits
; Kernel info:
; codeLenInByte = 0
; TotalNumSgprs: 0
; NumVgprs: 0
; ScratchSize: 0
; MemoryBound: 0
; FloatMode: 240
; IeeeMode: 1
; LDSByteSize: 0 bytes/workgroup (compile time only)
; SGPRBlocks: 0
; VGPRBlocks: 0
; NumSGPRsForWavesPerEU: 1
; NumVGPRsForWavesPerEU: 1
; Occupancy: 16
; WaveLimiterHint : 0
; COMPUTE_PGM_RSRC2:SCRATCH_EN: 0
; COMPUTE_PGM_RSRC2:USER_SGPR: 6
; COMPUTE_PGM_RSRC2:TRAP_HANDLER: 0
; COMPUTE_PGM_RSRC2:TGID_X_EN: 1
; COMPUTE_PGM_RSRC2:TGID_Y_EN: 0
; COMPUTE_PGM_RSRC2:TGID_Z_EN: 0
; COMPUTE_PGM_RSRC2:TIDIG_COMP_CNT: 0
	.section	.text._ZN7rocprim17ROCPRIM_400000_NS6detail17trampoline_kernelINS0_14default_configENS1_29reduce_by_key_config_selectorIiiN6thrust23THRUST_200600_302600_NS4plusIiEEEEZZNS1_33reduce_by_key_impl_wrapped_configILNS1_25lookback_scan_determinismE0ES3_S9_NS6_18transform_iteratorI25linear_index_to_row_indexIiENS6_17counting_iteratorIiNS6_11use_defaultESG_SG_EESG_SG_EENS6_6detail15normal_iteratorINS6_10device_ptrIiEEEESN_SN_PmS8_NS6_8equal_toIiEEEE10hipError_tPvRmT2_T3_mT4_T5_T6_T7_T8_P12ihipStream_tbENKUlT_T0_E_clISt17integral_constantIbLb0EES17_IbLb1EEEEDaS13_S14_EUlS13_E_NS1_11comp_targetILNS1_3genE10ELNS1_11target_archE1200ELNS1_3gpuE4ELNS1_3repE0EEENS1_30default_config_static_selectorELNS0_4arch9wavefront6targetE0EEEvT1_,"axG",@progbits,_ZN7rocprim17ROCPRIM_400000_NS6detail17trampoline_kernelINS0_14default_configENS1_29reduce_by_key_config_selectorIiiN6thrust23THRUST_200600_302600_NS4plusIiEEEEZZNS1_33reduce_by_key_impl_wrapped_configILNS1_25lookback_scan_determinismE0ES3_S9_NS6_18transform_iteratorI25linear_index_to_row_indexIiENS6_17counting_iteratorIiNS6_11use_defaultESG_SG_EESG_SG_EENS6_6detail15normal_iteratorINS6_10device_ptrIiEEEESN_SN_PmS8_NS6_8equal_toIiEEEE10hipError_tPvRmT2_T3_mT4_T5_T6_T7_T8_P12ihipStream_tbENKUlT_T0_E_clISt17integral_constantIbLb0EES17_IbLb1EEEEDaS13_S14_EUlS13_E_NS1_11comp_targetILNS1_3genE10ELNS1_11target_archE1200ELNS1_3gpuE4ELNS1_3repE0EEENS1_30default_config_static_selectorELNS0_4arch9wavefront6targetE0EEEvT1_,comdat
	.protected	_ZN7rocprim17ROCPRIM_400000_NS6detail17trampoline_kernelINS0_14default_configENS1_29reduce_by_key_config_selectorIiiN6thrust23THRUST_200600_302600_NS4plusIiEEEEZZNS1_33reduce_by_key_impl_wrapped_configILNS1_25lookback_scan_determinismE0ES3_S9_NS6_18transform_iteratorI25linear_index_to_row_indexIiENS6_17counting_iteratorIiNS6_11use_defaultESG_SG_EESG_SG_EENS6_6detail15normal_iteratorINS6_10device_ptrIiEEEESN_SN_PmS8_NS6_8equal_toIiEEEE10hipError_tPvRmT2_T3_mT4_T5_T6_T7_T8_P12ihipStream_tbENKUlT_T0_E_clISt17integral_constantIbLb0EES17_IbLb1EEEEDaS13_S14_EUlS13_E_NS1_11comp_targetILNS1_3genE10ELNS1_11target_archE1200ELNS1_3gpuE4ELNS1_3repE0EEENS1_30default_config_static_selectorELNS0_4arch9wavefront6targetE0EEEvT1_ ; -- Begin function _ZN7rocprim17ROCPRIM_400000_NS6detail17trampoline_kernelINS0_14default_configENS1_29reduce_by_key_config_selectorIiiN6thrust23THRUST_200600_302600_NS4plusIiEEEEZZNS1_33reduce_by_key_impl_wrapped_configILNS1_25lookback_scan_determinismE0ES3_S9_NS6_18transform_iteratorI25linear_index_to_row_indexIiENS6_17counting_iteratorIiNS6_11use_defaultESG_SG_EESG_SG_EENS6_6detail15normal_iteratorINS6_10device_ptrIiEEEESN_SN_PmS8_NS6_8equal_toIiEEEE10hipError_tPvRmT2_T3_mT4_T5_T6_T7_T8_P12ihipStream_tbENKUlT_T0_E_clISt17integral_constantIbLb0EES17_IbLb1EEEEDaS13_S14_EUlS13_E_NS1_11comp_targetILNS1_3genE10ELNS1_11target_archE1200ELNS1_3gpuE4ELNS1_3repE0EEENS1_30default_config_static_selectorELNS0_4arch9wavefront6targetE0EEEvT1_
	.globl	_ZN7rocprim17ROCPRIM_400000_NS6detail17trampoline_kernelINS0_14default_configENS1_29reduce_by_key_config_selectorIiiN6thrust23THRUST_200600_302600_NS4plusIiEEEEZZNS1_33reduce_by_key_impl_wrapped_configILNS1_25lookback_scan_determinismE0ES3_S9_NS6_18transform_iteratorI25linear_index_to_row_indexIiENS6_17counting_iteratorIiNS6_11use_defaultESG_SG_EESG_SG_EENS6_6detail15normal_iteratorINS6_10device_ptrIiEEEESN_SN_PmS8_NS6_8equal_toIiEEEE10hipError_tPvRmT2_T3_mT4_T5_T6_T7_T8_P12ihipStream_tbENKUlT_T0_E_clISt17integral_constantIbLb0EES17_IbLb1EEEEDaS13_S14_EUlS13_E_NS1_11comp_targetILNS1_3genE10ELNS1_11target_archE1200ELNS1_3gpuE4ELNS1_3repE0EEENS1_30default_config_static_selectorELNS0_4arch9wavefront6targetE0EEEvT1_
	.p2align	8
	.type	_ZN7rocprim17ROCPRIM_400000_NS6detail17trampoline_kernelINS0_14default_configENS1_29reduce_by_key_config_selectorIiiN6thrust23THRUST_200600_302600_NS4plusIiEEEEZZNS1_33reduce_by_key_impl_wrapped_configILNS1_25lookback_scan_determinismE0ES3_S9_NS6_18transform_iteratorI25linear_index_to_row_indexIiENS6_17counting_iteratorIiNS6_11use_defaultESG_SG_EESG_SG_EENS6_6detail15normal_iteratorINS6_10device_ptrIiEEEESN_SN_PmS8_NS6_8equal_toIiEEEE10hipError_tPvRmT2_T3_mT4_T5_T6_T7_T8_P12ihipStream_tbENKUlT_T0_E_clISt17integral_constantIbLb0EES17_IbLb1EEEEDaS13_S14_EUlS13_E_NS1_11comp_targetILNS1_3genE10ELNS1_11target_archE1200ELNS1_3gpuE4ELNS1_3repE0EEENS1_30default_config_static_selectorELNS0_4arch9wavefront6targetE0EEEvT1_,@function
_ZN7rocprim17ROCPRIM_400000_NS6detail17trampoline_kernelINS0_14default_configENS1_29reduce_by_key_config_selectorIiiN6thrust23THRUST_200600_302600_NS4plusIiEEEEZZNS1_33reduce_by_key_impl_wrapped_configILNS1_25lookback_scan_determinismE0ES3_S9_NS6_18transform_iteratorI25linear_index_to_row_indexIiENS6_17counting_iteratorIiNS6_11use_defaultESG_SG_EESG_SG_EENS6_6detail15normal_iteratorINS6_10device_ptrIiEEEESN_SN_PmS8_NS6_8equal_toIiEEEE10hipError_tPvRmT2_T3_mT4_T5_T6_T7_T8_P12ihipStream_tbENKUlT_T0_E_clISt17integral_constantIbLb0EES17_IbLb1EEEEDaS13_S14_EUlS13_E_NS1_11comp_targetILNS1_3genE10ELNS1_11target_archE1200ELNS1_3gpuE4ELNS1_3repE0EEENS1_30default_config_static_selectorELNS0_4arch9wavefront6targetE0EEEvT1_: ; @_ZN7rocprim17ROCPRIM_400000_NS6detail17trampoline_kernelINS0_14default_configENS1_29reduce_by_key_config_selectorIiiN6thrust23THRUST_200600_302600_NS4plusIiEEEEZZNS1_33reduce_by_key_impl_wrapped_configILNS1_25lookback_scan_determinismE0ES3_S9_NS6_18transform_iteratorI25linear_index_to_row_indexIiENS6_17counting_iteratorIiNS6_11use_defaultESG_SG_EESG_SG_EENS6_6detail15normal_iteratorINS6_10device_ptrIiEEEESN_SN_PmS8_NS6_8equal_toIiEEEE10hipError_tPvRmT2_T3_mT4_T5_T6_T7_T8_P12ihipStream_tbENKUlT_T0_E_clISt17integral_constantIbLb0EES17_IbLb1EEEEDaS13_S14_EUlS13_E_NS1_11comp_targetILNS1_3genE10ELNS1_11target_archE1200ELNS1_3gpuE4ELNS1_3repE0EEENS1_30default_config_static_selectorELNS0_4arch9wavefront6targetE0EEEvT1_
; %bb.0:
	.section	.rodata,"a",@progbits
	.p2align	6, 0x0
	.amdhsa_kernel _ZN7rocprim17ROCPRIM_400000_NS6detail17trampoline_kernelINS0_14default_configENS1_29reduce_by_key_config_selectorIiiN6thrust23THRUST_200600_302600_NS4plusIiEEEEZZNS1_33reduce_by_key_impl_wrapped_configILNS1_25lookback_scan_determinismE0ES3_S9_NS6_18transform_iteratorI25linear_index_to_row_indexIiENS6_17counting_iteratorIiNS6_11use_defaultESG_SG_EESG_SG_EENS6_6detail15normal_iteratorINS6_10device_ptrIiEEEESN_SN_PmS8_NS6_8equal_toIiEEEE10hipError_tPvRmT2_T3_mT4_T5_T6_T7_T8_P12ihipStream_tbENKUlT_T0_E_clISt17integral_constantIbLb0EES17_IbLb1EEEEDaS13_S14_EUlS13_E_NS1_11comp_targetILNS1_3genE10ELNS1_11target_archE1200ELNS1_3gpuE4ELNS1_3repE0EEENS1_30default_config_static_selectorELNS0_4arch9wavefront6targetE0EEEvT1_
		.amdhsa_group_segment_fixed_size 0
		.amdhsa_private_segment_fixed_size 0
		.amdhsa_kernarg_size 120
		.amdhsa_user_sgpr_count 6
		.amdhsa_user_sgpr_private_segment_buffer 1
		.amdhsa_user_sgpr_dispatch_ptr 0
		.amdhsa_user_sgpr_queue_ptr 0
		.amdhsa_user_sgpr_kernarg_segment_ptr 1
		.amdhsa_user_sgpr_dispatch_id 0
		.amdhsa_user_sgpr_flat_scratch_init 0
		.amdhsa_user_sgpr_private_segment_size 0
		.amdhsa_wavefront_size32 1
		.amdhsa_uses_dynamic_stack 0
		.amdhsa_system_sgpr_private_segment_wavefront_offset 0
		.amdhsa_system_sgpr_workgroup_id_x 1
		.amdhsa_system_sgpr_workgroup_id_y 0
		.amdhsa_system_sgpr_workgroup_id_z 0
		.amdhsa_system_sgpr_workgroup_info 0
		.amdhsa_system_vgpr_workitem_id 0
		.amdhsa_next_free_vgpr 1
		.amdhsa_next_free_sgpr 1
		.amdhsa_reserve_vcc 0
		.amdhsa_reserve_flat_scratch 0
		.amdhsa_float_round_mode_32 0
		.amdhsa_float_round_mode_16_64 0
		.amdhsa_float_denorm_mode_32 3
		.amdhsa_float_denorm_mode_16_64 3
		.amdhsa_dx10_clamp 1
		.amdhsa_ieee_mode 1
		.amdhsa_fp16_overflow 0
		.amdhsa_workgroup_processor_mode 1
		.amdhsa_memory_ordered 1
		.amdhsa_forward_progress 1
		.amdhsa_shared_vgpr_count 0
		.amdhsa_exception_fp_ieee_invalid_op 0
		.amdhsa_exception_fp_denorm_src 0
		.amdhsa_exception_fp_ieee_div_zero 0
		.amdhsa_exception_fp_ieee_overflow 0
		.amdhsa_exception_fp_ieee_underflow 0
		.amdhsa_exception_fp_ieee_inexact 0
		.amdhsa_exception_int_div_zero 0
	.end_amdhsa_kernel
	.section	.text._ZN7rocprim17ROCPRIM_400000_NS6detail17trampoline_kernelINS0_14default_configENS1_29reduce_by_key_config_selectorIiiN6thrust23THRUST_200600_302600_NS4plusIiEEEEZZNS1_33reduce_by_key_impl_wrapped_configILNS1_25lookback_scan_determinismE0ES3_S9_NS6_18transform_iteratorI25linear_index_to_row_indexIiENS6_17counting_iteratorIiNS6_11use_defaultESG_SG_EESG_SG_EENS6_6detail15normal_iteratorINS6_10device_ptrIiEEEESN_SN_PmS8_NS6_8equal_toIiEEEE10hipError_tPvRmT2_T3_mT4_T5_T6_T7_T8_P12ihipStream_tbENKUlT_T0_E_clISt17integral_constantIbLb0EES17_IbLb1EEEEDaS13_S14_EUlS13_E_NS1_11comp_targetILNS1_3genE10ELNS1_11target_archE1200ELNS1_3gpuE4ELNS1_3repE0EEENS1_30default_config_static_selectorELNS0_4arch9wavefront6targetE0EEEvT1_,"axG",@progbits,_ZN7rocprim17ROCPRIM_400000_NS6detail17trampoline_kernelINS0_14default_configENS1_29reduce_by_key_config_selectorIiiN6thrust23THRUST_200600_302600_NS4plusIiEEEEZZNS1_33reduce_by_key_impl_wrapped_configILNS1_25lookback_scan_determinismE0ES3_S9_NS6_18transform_iteratorI25linear_index_to_row_indexIiENS6_17counting_iteratorIiNS6_11use_defaultESG_SG_EESG_SG_EENS6_6detail15normal_iteratorINS6_10device_ptrIiEEEESN_SN_PmS8_NS6_8equal_toIiEEEE10hipError_tPvRmT2_T3_mT4_T5_T6_T7_T8_P12ihipStream_tbENKUlT_T0_E_clISt17integral_constantIbLb0EES17_IbLb1EEEEDaS13_S14_EUlS13_E_NS1_11comp_targetILNS1_3genE10ELNS1_11target_archE1200ELNS1_3gpuE4ELNS1_3repE0EEENS1_30default_config_static_selectorELNS0_4arch9wavefront6targetE0EEEvT1_,comdat
.Lfunc_end47:
	.size	_ZN7rocprim17ROCPRIM_400000_NS6detail17trampoline_kernelINS0_14default_configENS1_29reduce_by_key_config_selectorIiiN6thrust23THRUST_200600_302600_NS4plusIiEEEEZZNS1_33reduce_by_key_impl_wrapped_configILNS1_25lookback_scan_determinismE0ES3_S9_NS6_18transform_iteratorI25linear_index_to_row_indexIiENS6_17counting_iteratorIiNS6_11use_defaultESG_SG_EESG_SG_EENS6_6detail15normal_iteratorINS6_10device_ptrIiEEEESN_SN_PmS8_NS6_8equal_toIiEEEE10hipError_tPvRmT2_T3_mT4_T5_T6_T7_T8_P12ihipStream_tbENKUlT_T0_E_clISt17integral_constantIbLb0EES17_IbLb1EEEEDaS13_S14_EUlS13_E_NS1_11comp_targetILNS1_3genE10ELNS1_11target_archE1200ELNS1_3gpuE4ELNS1_3repE0EEENS1_30default_config_static_selectorELNS0_4arch9wavefront6targetE0EEEvT1_, .Lfunc_end47-_ZN7rocprim17ROCPRIM_400000_NS6detail17trampoline_kernelINS0_14default_configENS1_29reduce_by_key_config_selectorIiiN6thrust23THRUST_200600_302600_NS4plusIiEEEEZZNS1_33reduce_by_key_impl_wrapped_configILNS1_25lookback_scan_determinismE0ES3_S9_NS6_18transform_iteratorI25linear_index_to_row_indexIiENS6_17counting_iteratorIiNS6_11use_defaultESG_SG_EESG_SG_EENS6_6detail15normal_iteratorINS6_10device_ptrIiEEEESN_SN_PmS8_NS6_8equal_toIiEEEE10hipError_tPvRmT2_T3_mT4_T5_T6_T7_T8_P12ihipStream_tbENKUlT_T0_E_clISt17integral_constantIbLb0EES17_IbLb1EEEEDaS13_S14_EUlS13_E_NS1_11comp_targetILNS1_3genE10ELNS1_11target_archE1200ELNS1_3gpuE4ELNS1_3repE0EEENS1_30default_config_static_selectorELNS0_4arch9wavefront6targetE0EEEvT1_
                                        ; -- End function
	.set _ZN7rocprim17ROCPRIM_400000_NS6detail17trampoline_kernelINS0_14default_configENS1_29reduce_by_key_config_selectorIiiN6thrust23THRUST_200600_302600_NS4plusIiEEEEZZNS1_33reduce_by_key_impl_wrapped_configILNS1_25lookback_scan_determinismE0ES3_S9_NS6_18transform_iteratorI25linear_index_to_row_indexIiENS6_17counting_iteratorIiNS6_11use_defaultESG_SG_EESG_SG_EENS6_6detail15normal_iteratorINS6_10device_ptrIiEEEESN_SN_PmS8_NS6_8equal_toIiEEEE10hipError_tPvRmT2_T3_mT4_T5_T6_T7_T8_P12ihipStream_tbENKUlT_T0_E_clISt17integral_constantIbLb0EES17_IbLb1EEEEDaS13_S14_EUlS13_E_NS1_11comp_targetILNS1_3genE10ELNS1_11target_archE1200ELNS1_3gpuE4ELNS1_3repE0EEENS1_30default_config_static_selectorELNS0_4arch9wavefront6targetE0EEEvT1_.num_vgpr, 0
	.set _ZN7rocprim17ROCPRIM_400000_NS6detail17trampoline_kernelINS0_14default_configENS1_29reduce_by_key_config_selectorIiiN6thrust23THRUST_200600_302600_NS4plusIiEEEEZZNS1_33reduce_by_key_impl_wrapped_configILNS1_25lookback_scan_determinismE0ES3_S9_NS6_18transform_iteratorI25linear_index_to_row_indexIiENS6_17counting_iteratorIiNS6_11use_defaultESG_SG_EESG_SG_EENS6_6detail15normal_iteratorINS6_10device_ptrIiEEEESN_SN_PmS8_NS6_8equal_toIiEEEE10hipError_tPvRmT2_T3_mT4_T5_T6_T7_T8_P12ihipStream_tbENKUlT_T0_E_clISt17integral_constantIbLb0EES17_IbLb1EEEEDaS13_S14_EUlS13_E_NS1_11comp_targetILNS1_3genE10ELNS1_11target_archE1200ELNS1_3gpuE4ELNS1_3repE0EEENS1_30default_config_static_selectorELNS0_4arch9wavefront6targetE0EEEvT1_.num_agpr, 0
	.set _ZN7rocprim17ROCPRIM_400000_NS6detail17trampoline_kernelINS0_14default_configENS1_29reduce_by_key_config_selectorIiiN6thrust23THRUST_200600_302600_NS4plusIiEEEEZZNS1_33reduce_by_key_impl_wrapped_configILNS1_25lookback_scan_determinismE0ES3_S9_NS6_18transform_iteratorI25linear_index_to_row_indexIiENS6_17counting_iteratorIiNS6_11use_defaultESG_SG_EESG_SG_EENS6_6detail15normal_iteratorINS6_10device_ptrIiEEEESN_SN_PmS8_NS6_8equal_toIiEEEE10hipError_tPvRmT2_T3_mT4_T5_T6_T7_T8_P12ihipStream_tbENKUlT_T0_E_clISt17integral_constantIbLb0EES17_IbLb1EEEEDaS13_S14_EUlS13_E_NS1_11comp_targetILNS1_3genE10ELNS1_11target_archE1200ELNS1_3gpuE4ELNS1_3repE0EEENS1_30default_config_static_selectorELNS0_4arch9wavefront6targetE0EEEvT1_.numbered_sgpr, 0
	.set _ZN7rocprim17ROCPRIM_400000_NS6detail17trampoline_kernelINS0_14default_configENS1_29reduce_by_key_config_selectorIiiN6thrust23THRUST_200600_302600_NS4plusIiEEEEZZNS1_33reduce_by_key_impl_wrapped_configILNS1_25lookback_scan_determinismE0ES3_S9_NS6_18transform_iteratorI25linear_index_to_row_indexIiENS6_17counting_iteratorIiNS6_11use_defaultESG_SG_EESG_SG_EENS6_6detail15normal_iteratorINS6_10device_ptrIiEEEESN_SN_PmS8_NS6_8equal_toIiEEEE10hipError_tPvRmT2_T3_mT4_T5_T6_T7_T8_P12ihipStream_tbENKUlT_T0_E_clISt17integral_constantIbLb0EES17_IbLb1EEEEDaS13_S14_EUlS13_E_NS1_11comp_targetILNS1_3genE10ELNS1_11target_archE1200ELNS1_3gpuE4ELNS1_3repE0EEENS1_30default_config_static_selectorELNS0_4arch9wavefront6targetE0EEEvT1_.num_named_barrier, 0
	.set _ZN7rocprim17ROCPRIM_400000_NS6detail17trampoline_kernelINS0_14default_configENS1_29reduce_by_key_config_selectorIiiN6thrust23THRUST_200600_302600_NS4plusIiEEEEZZNS1_33reduce_by_key_impl_wrapped_configILNS1_25lookback_scan_determinismE0ES3_S9_NS6_18transform_iteratorI25linear_index_to_row_indexIiENS6_17counting_iteratorIiNS6_11use_defaultESG_SG_EESG_SG_EENS6_6detail15normal_iteratorINS6_10device_ptrIiEEEESN_SN_PmS8_NS6_8equal_toIiEEEE10hipError_tPvRmT2_T3_mT4_T5_T6_T7_T8_P12ihipStream_tbENKUlT_T0_E_clISt17integral_constantIbLb0EES17_IbLb1EEEEDaS13_S14_EUlS13_E_NS1_11comp_targetILNS1_3genE10ELNS1_11target_archE1200ELNS1_3gpuE4ELNS1_3repE0EEENS1_30default_config_static_selectorELNS0_4arch9wavefront6targetE0EEEvT1_.private_seg_size, 0
	.set _ZN7rocprim17ROCPRIM_400000_NS6detail17trampoline_kernelINS0_14default_configENS1_29reduce_by_key_config_selectorIiiN6thrust23THRUST_200600_302600_NS4plusIiEEEEZZNS1_33reduce_by_key_impl_wrapped_configILNS1_25lookback_scan_determinismE0ES3_S9_NS6_18transform_iteratorI25linear_index_to_row_indexIiENS6_17counting_iteratorIiNS6_11use_defaultESG_SG_EESG_SG_EENS6_6detail15normal_iteratorINS6_10device_ptrIiEEEESN_SN_PmS8_NS6_8equal_toIiEEEE10hipError_tPvRmT2_T3_mT4_T5_T6_T7_T8_P12ihipStream_tbENKUlT_T0_E_clISt17integral_constantIbLb0EES17_IbLb1EEEEDaS13_S14_EUlS13_E_NS1_11comp_targetILNS1_3genE10ELNS1_11target_archE1200ELNS1_3gpuE4ELNS1_3repE0EEENS1_30default_config_static_selectorELNS0_4arch9wavefront6targetE0EEEvT1_.uses_vcc, 0
	.set _ZN7rocprim17ROCPRIM_400000_NS6detail17trampoline_kernelINS0_14default_configENS1_29reduce_by_key_config_selectorIiiN6thrust23THRUST_200600_302600_NS4plusIiEEEEZZNS1_33reduce_by_key_impl_wrapped_configILNS1_25lookback_scan_determinismE0ES3_S9_NS6_18transform_iteratorI25linear_index_to_row_indexIiENS6_17counting_iteratorIiNS6_11use_defaultESG_SG_EESG_SG_EENS6_6detail15normal_iteratorINS6_10device_ptrIiEEEESN_SN_PmS8_NS6_8equal_toIiEEEE10hipError_tPvRmT2_T3_mT4_T5_T6_T7_T8_P12ihipStream_tbENKUlT_T0_E_clISt17integral_constantIbLb0EES17_IbLb1EEEEDaS13_S14_EUlS13_E_NS1_11comp_targetILNS1_3genE10ELNS1_11target_archE1200ELNS1_3gpuE4ELNS1_3repE0EEENS1_30default_config_static_selectorELNS0_4arch9wavefront6targetE0EEEvT1_.uses_flat_scratch, 0
	.set _ZN7rocprim17ROCPRIM_400000_NS6detail17trampoline_kernelINS0_14default_configENS1_29reduce_by_key_config_selectorIiiN6thrust23THRUST_200600_302600_NS4plusIiEEEEZZNS1_33reduce_by_key_impl_wrapped_configILNS1_25lookback_scan_determinismE0ES3_S9_NS6_18transform_iteratorI25linear_index_to_row_indexIiENS6_17counting_iteratorIiNS6_11use_defaultESG_SG_EESG_SG_EENS6_6detail15normal_iteratorINS6_10device_ptrIiEEEESN_SN_PmS8_NS6_8equal_toIiEEEE10hipError_tPvRmT2_T3_mT4_T5_T6_T7_T8_P12ihipStream_tbENKUlT_T0_E_clISt17integral_constantIbLb0EES17_IbLb1EEEEDaS13_S14_EUlS13_E_NS1_11comp_targetILNS1_3genE10ELNS1_11target_archE1200ELNS1_3gpuE4ELNS1_3repE0EEENS1_30default_config_static_selectorELNS0_4arch9wavefront6targetE0EEEvT1_.has_dyn_sized_stack, 0
	.set _ZN7rocprim17ROCPRIM_400000_NS6detail17trampoline_kernelINS0_14default_configENS1_29reduce_by_key_config_selectorIiiN6thrust23THRUST_200600_302600_NS4plusIiEEEEZZNS1_33reduce_by_key_impl_wrapped_configILNS1_25lookback_scan_determinismE0ES3_S9_NS6_18transform_iteratorI25linear_index_to_row_indexIiENS6_17counting_iteratorIiNS6_11use_defaultESG_SG_EESG_SG_EENS6_6detail15normal_iteratorINS6_10device_ptrIiEEEESN_SN_PmS8_NS6_8equal_toIiEEEE10hipError_tPvRmT2_T3_mT4_T5_T6_T7_T8_P12ihipStream_tbENKUlT_T0_E_clISt17integral_constantIbLb0EES17_IbLb1EEEEDaS13_S14_EUlS13_E_NS1_11comp_targetILNS1_3genE10ELNS1_11target_archE1200ELNS1_3gpuE4ELNS1_3repE0EEENS1_30default_config_static_selectorELNS0_4arch9wavefront6targetE0EEEvT1_.has_recursion, 0
	.set _ZN7rocprim17ROCPRIM_400000_NS6detail17trampoline_kernelINS0_14default_configENS1_29reduce_by_key_config_selectorIiiN6thrust23THRUST_200600_302600_NS4plusIiEEEEZZNS1_33reduce_by_key_impl_wrapped_configILNS1_25lookback_scan_determinismE0ES3_S9_NS6_18transform_iteratorI25linear_index_to_row_indexIiENS6_17counting_iteratorIiNS6_11use_defaultESG_SG_EESG_SG_EENS6_6detail15normal_iteratorINS6_10device_ptrIiEEEESN_SN_PmS8_NS6_8equal_toIiEEEE10hipError_tPvRmT2_T3_mT4_T5_T6_T7_T8_P12ihipStream_tbENKUlT_T0_E_clISt17integral_constantIbLb0EES17_IbLb1EEEEDaS13_S14_EUlS13_E_NS1_11comp_targetILNS1_3genE10ELNS1_11target_archE1200ELNS1_3gpuE4ELNS1_3repE0EEENS1_30default_config_static_selectorELNS0_4arch9wavefront6targetE0EEEvT1_.has_indirect_call, 0
	.section	.AMDGPU.csdata,"",@progbits
; Kernel info:
; codeLenInByte = 0
; TotalNumSgprs: 0
; NumVgprs: 0
; ScratchSize: 0
; MemoryBound: 0
; FloatMode: 240
; IeeeMode: 1
; LDSByteSize: 0 bytes/workgroup (compile time only)
; SGPRBlocks: 0
; VGPRBlocks: 0
; NumSGPRsForWavesPerEU: 1
; NumVGPRsForWavesPerEU: 1
; Occupancy: 16
; WaveLimiterHint : 0
; COMPUTE_PGM_RSRC2:SCRATCH_EN: 0
; COMPUTE_PGM_RSRC2:USER_SGPR: 6
; COMPUTE_PGM_RSRC2:TRAP_HANDLER: 0
; COMPUTE_PGM_RSRC2:TGID_X_EN: 1
; COMPUTE_PGM_RSRC2:TGID_Y_EN: 0
; COMPUTE_PGM_RSRC2:TGID_Z_EN: 0
; COMPUTE_PGM_RSRC2:TIDIG_COMP_CNT: 0
	.section	.text._ZN7rocprim17ROCPRIM_400000_NS6detail17trampoline_kernelINS0_14default_configENS1_29reduce_by_key_config_selectorIiiN6thrust23THRUST_200600_302600_NS4plusIiEEEEZZNS1_33reduce_by_key_impl_wrapped_configILNS1_25lookback_scan_determinismE0ES3_S9_NS6_18transform_iteratorI25linear_index_to_row_indexIiENS6_17counting_iteratorIiNS6_11use_defaultESG_SG_EESG_SG_EENS6_6detail15normal_iteratorINS6_10device_ptrIiEEEESN_SN_PmS8_NS6_8equal_toIiEEEE10hipError_tPvRmT2_T3_mT4_T5_T6_T7_T8_P12ihipStream_tbENKUlT_T0_E_clISt17integral_constantIbLb0EES17_IbLb1EEEEDaS13_S14_EUlS13_E_NS1_11comp_targetILNS1_3genE9ELNS1_11target_archE1100ELNS1_3gpuE3ELNS1_3repE0EEENS1_30default_config_static_selectorELNS0_4arch9wavefront6targetE0EEEvT1_,"axG",@progbits,_ZN7rocprim17ROCPRIM_400000_NS6detail17trampoline_kernelINS0_14default_configENS1_29reduce_by_key_config_selectorIiiN6thrust23THRUST_200600_302600_NS4plusIiEEEEZZNS1_33reduce_by_key_impl_wrapped_configILNS1_25lookback_scan_determinismE0ES3_S9_NS6_18transform_iteratorI25linear_index_to_row_indexIiENS6_17counting_iteratorIiNS6_11use_defaultESG_SG_EESG_SG_EENS6_6detail15normal_iteratorINS6_10device_ptrIiEEEESN_SN_PmS8_NS6_8equal_toIiEEEE10hipError_tPvRmT2_T3_mT4_T5_T6_T7_T8_P12ihipStream_tbENKUlT_T0_E_clISt17integral_constantIbLb0EES17_IbLb1EEEEDaS13_S14_EUlS13_E_NS1_11comp_targetILNS1_3genE9ELNS1_11target_archE1100ELNS1_3gpuE3ELNS1_3repE0EEENS1_30default_config_static_selectorELNS0_4arch9wavefront6targetE0EEEvT1_,comdat
	.protected	_ZN7rocprim17ROCPRIM_400000_NS6detail17trampoline_kernelINS0_14default_configENS1_29reduce_by_key_config_selectorIiiN6thrust23THRUST_200600_302600_NS4plusIiEEEEZZNS1_33reduce_by_key_impl_wrapped_configILNS1_25lookback_scan_determinismE0ES3_S9_NS6_18transform_iteratorI25linear_index_to_row_indexIiENS6_17counting_iteratorIiNS6_11use_defaultESG_SG_EESG_SG_EENS6_6detail15normal_iteratorINS6_10device_ptrIiEEEESN_SN_PmS8_NS6_8equal_toIiEEEE10hipError_tPvRmT2_T3_mT4_T5_T6_T7_T8_P12ihipStream_tbENKUlT_T0_E_clISt17integral_constantIbLb0EES17_IbLb1EEEEDaS13_S14_EUlS13_E_NS1_11comp_targetILNS1_3genE9ELNS1_11target_archE1100ELNS1_3gpuE3ELNS1_3repE0EEENS1_30default_config_static_selectorELNS0_4arch9wavefront6targetE0EEEvT1_ ; -- Begin function _ZN7rocprim17ROCPRIM_400000_NS6detail17trampoline_kernelINS0_14default_configENS1_29reduce_by_key_config_selectorIiiN6thrust23THRUST_200600_302600_NS4plusIiEEEEZZNS1_33reduce_by_key_impl_wrapped_configILNS1_25lookback_scan_determinismE0ES3_S9_NS6_18transform_iteratorI25linear_index_to_row_indexIiENS6_17counting_iteratorIiNS6_11use_defaultESG_SG_EESG_SG_EENS6_6detail15normal_iteratorINS6_10device_ptrIiEEEESN_SN_PmS8_NS6_8equal_toIiEEEE10hipError_tPvRmT2_T3_mT4_T5_T6_T7_T8_P12ihipStream_tbENKUlT_T0_E_clISt17integral_constantIbLb0EES17_IbLb1EEEEDaS13_S14_EUlS13_E_NS1_11comp_targetILNS1_3genE9ELNS1_11target_archE1100ELNS1_3gpuE3ELNS1_3repE0EEENS1_30default_config_static_selectorELNS0_4arch9wavefront6targetE0EEEvT1_
	.globl	_ZN7rocprim17ROCPRIM_400000_NS6detail17trampoline_kernelINS0_14default_configENS1_29reduce_by_key_config_selectorIiiN6thrust23THRUST_200600_302600_NS4plusIiEEEEZZNS1_33reduce_by_key_impl_wrapped_configILNS1_25lookback_scan_determinismE0ES3_S9_NS6_18transform_iteratorI25linear_index_to_row_indexIiENS6_17counting_iteratorIiNS6_11use_defaultESG_SG_EESG_SG_EENS6_6detail15normal_iteratorINS6_10device_ptrIiEEEESN_SN_PmS8_NS6_8equal_toIiEEEE10hipError_tPvRmT2_T3_mT4_T5_T6_T7_T8_P12ihipStream_tbENKUlT_T0_E_clISt17integral_constantIbLb0EES17_IbLb1EEEEDaS13_S14_EUlS13_E_NS1_11comp_targetILNS1_3genE9ELNS1_11target_archE1100ELNS1_3gpuE3ELNS1_3repE0EEENS1_30default_config_static_selectorELNS0_4arch9wavefront6targetE0EEEvT1_
	.p2align	8
	.type	_ZN7rocprim17ROCPRIM_400000_NS6detail17trampoline_kernelINS0_14default_configENS1_29reduce_by_key_config_selectorIiiN6thrust23THRUST_200600_302600_NS4plusIiEEEEZZNS1_33reduce_by_key_impl_wrapped_configILNS1_25lookback_scan_determinismE0ES3_S9_NS6_18transform_iteratorI25linear_index_to_row_indexIiENS6_17counting_iteratorIiNS6_11use_defaultESG_SG_EESG_SG_EENS6_6detail15normal_iteratorINS6_10device_ptrIiEEEESN_SN_PmS8_NS6_8equal_toIiEEEE10hipError_tPvRmT2_T3_mT4_T5_T6_T7_T8_P12ihipStream_tbENKUlT_T0_E_clISt17integral_constantIbLb0EES17_IbLb1EEEEDaS13_S14_EUlS13_E_NS1_11comp_targetILNS1_3genE9ELNS1_11target_archE1100ELNS1_3gpuE3ELNS1_3repE0EEENS1_30default_config_static_selectorELNS0_4arch9wavefront6targetE0EEEvT1_,@function
_ZN7rocprim17ROCPRIM_400000_NS6detail17trampoline_kernelINS0_14default_configENS1_29reduce_by_key_config_selectorIiiN6thrust23THRUST_200600_302600_NS4plusIiEEEEZZNS1_33reduce_by_key_impl_wrapped_configILNS1_25lookback_scan_determinismE0ES3_S9_NS6_18transform_iteratorI25linear_index_to_row_indexIiENS6_17counting_iteratorIiNS6_11use_defaultESG_SG_EESG_SG_EENS6_6detail15normal_iteratorINS6_10device_ptrIiEEEESN_SN_PmS8_NS6_8equal_toIiEEEE10hipError_tPvRmT2_T3_mT4_T5_T6_T7_T8_P12ihipStream_tbENKUlT_T0_E_clISt17integral_constantIbLb0EES17_IbLb1EEEEDaS13_S14_EUlS13_E_NS1_11comp_targetILNS1_3genE9ELNS1_11target_archE1100ELNS1_3gpuE3ELNS1_3repE0EEENS1_30default_config_static_selectorELNS0_4arch9wavefront6targetE0EEEvT1_: ; @_ZN7rocprim17ROCPRIM_400000_NS6detail17trampoline_kernelINS0_14default_configENS1_29reduce_by_key_config_selectorIiiN6thrust23THRUST_200600_302600_NS4plusIiEEEEZZNS1_33reduce_by_key_impl_wrapped_configILNS1_25lookback_scan_determinismE0ES3_S9_NS6_18transform_iteratorI25linear_index_to_row_indexIiENS6_17counting_iteratorIiNS6_11use_defaultESG_SG_EESG_SG_EENS6_6detail15normal_iteratorINS6_10device_ptrIiEEEESN_SN_PmS8_NS6_8equal_toIiEEEE10hipError_tPvRmT2_T3_mT4_T5_T6_T7_T8_P12ihipStream_tbENKUlT_T0_E_clISt17integral_constantIbLb0EES17_IbLb1EEEEDaS13_S14_EUlS13_E_NS1_11comp_targetILNS1_3genE9ELNS1_11target_archE1100ELNS1_3gpuE3ELNS1_3repE0EEENS1_30default_config_static_selectorELNS0_4arch9wavefront6targetE0EEEvT1_
; %bb.0:
	.section	.rodata,"a",@progbits
	.p2align	6, 0x0
	.amdhsa_kernel _ZN7rocprim17ROCPRIM_400000_NS6detail17trampoline_kernelINS0_14default_configENS1_29reduce_by_key_config_selectorIiiN6thrust23THRUST_200600_302600_NS4plusIiEEEEZZNS1_33reduce_by_key_impl_wrapped_configILNS1_25lookback_scan_determinismE0ES3_S9_NS6_18transform_iteratorI25linear_index_to_row_indexIiENS6_17counting_iteratorIiNS6_11use_defaultESG_SG_EESG_SG_EENS6_6detail15normal_iteratorINS6_10device_ptrIiEEEESN_SN_PmS8_NS6_8equal_toIiEEEE10hipError_tPvRmT2_T3_mT4_T5_T6_T7_T8_P12ihipStream_tbENKUlT_T0_E_clISt17integral_constantIbLb0EES17_IbLb1EEEEDaS13_S14_EUlS13_E_NS1_11comp_targetILNS1_3genE9ELNS1_11target_archE1100ELNS1_3gpuE3ELNS1_3repE0EEENS1_30default_config_static_selectorELNS0_4arch9wavefront6targetE0EEEvT1_
		.amdhsa_group_segment_fixed_size 0
		.amdhsa_private_segment_fixed_size 0
		.amdhsa_kernarg_size 120
		.amdhsa_user_sgpr_count 6
		.amdhsa_user_sgpr_private_segment_buffer 1
		.amdhsa_user_sgpr_dispatch_ptr 0
		.amdhsa_user_sgpr_queue_ptr 0
		.amdhsa_user_sgpr_kernarg_segment_ptr 1
		.amdhsa_user_sgpr_dispatch_id 0
		.amdhsa_user_sgpr_flat_scratch_init 0
		.amdhsa_user_sgpr_private_segment_size 0
		.amdhsa_wavefront_size32 1
		.amdhsa_uses_dynamic_stack 0
		.amdhsa_system_sgpr_private_segment_wavefront_offset 0
		.amdhsa_system_sgpr_workgroup_id_x 1
		.amdhsa_system_sgpr_workgroup_id_y 0
		.amdhsa_system_sgpr_workgroup_id_z 0
		.amdhsa_system_sgpr_workgroup_info 0
		.amdhsa_system_vgpr_workitem_id 0
		.amdhsa_next_free_vgpr 1
		.amdhsa_next_free_sgpr 1
		.amdhsa_reserve_vcc 0
		.amdhsa_reserve_flat_scratch 0
		.amdhsa_float_round_mode_32 0
		.amdhsa_float_round_mode_16_64 0
		.amdhsa_float_denorm_mode_32 3
		.amdhsa_float_denorm_mode_16_64 3
		.amdhsa_dx10_clamp 1
		.amdhsa_ieee_mode 1
		.amdhsa_fp16_overflow 0
		.amdhsa_workgroup_processor_mode 1
		.amdhsa_memory_ordered 1
		.amdhsa_forward_progress 1
		.amdhsa_shared_vgpr_count 0
		.amdhsa_exception_fp_ieee_invalid_op 0
		.amdhsa_exception_fp_denorm_src 0
		.amdhsa_exception_fp_ieee_div_zero 0
		.amdhsa_exception_fp_ieee_overflow 0
		.amdhsa_exception_fp_ieee_underflow 0
		.amdhsa_exception_fp_ieee_inexact 0
		.amdhsa_exception_int_div_zero 0
	.end_amdhsa_kernel
	.section	.text._ZN7rocprim17ROCPRIM_400000_NS6detail17trampoline_kernelINS0_14default_configENS1_29reduce_by_key_config_selectorIiiN6thrust23THRUST_200600_302600_NS4plusIiEEEEZZNS1_33reduce_by_key_impl_wrapped_configILNS1_25lookback_scan_determinismE0ES3_S9_NS6_18transform_iteratorI25linear_index_to_row_indexIiENS6_17counting_iteratorIiNS6_11use_defaultESG_SG_EESG_SG_EENS6_6detail15normal_iteratorINS6_10device_ptrIiEEEESN_SN_PmS8_NS6_8equal_toIiEEEE10hipError_tPvRmT2_T3_mT4_T5_T6_T7_T8_P12ihipStream_tbENKUlT_T0_E_clISt17integral_constantIbLb0EES17_IbLb1EEEEDaS13_S14_EUlS13_E_NS1_11comp_targetILNS1_3genE9ELNS1_11target_archE1100ELNS1_3gpuE3ELNS1_3repE0EEENS1_30default_config_static_selectorELNS0_4arch9wavefront6targetE0EEEvT1_,"axG",@progbits,_ZN7rocprim17ROCPRIM_400000_NS6detail17trampoline_kernelINS0_14default_configENS1_29reduce_by_key_config_selectorIiiN6thrust23THRUST_200600_302600_NS4plusIiEEEEZZNS1_33reduce_by_key_impl_wrapped_configILNS1_25lookback_scan_determinismE0ES3_S9_NS6_18transform_iteratorI25linear_index_to_row_indexIiENS6_17counting_iteratorIiNS6_11use_defaultESG_SG_EESG_SG_EENS6_6detail15normal_iteratorINS6_10device_ptrIiEEEESN_SN_PmS8_NS6_8equal_toIiEEEE10hipError_tPvRmT2_T3_mT4_T5_T6_T7_T8_P12ihipStream_tbENKUlT_T0_E_clISt17integral_constantIbLb0EES17_IbLb1EEEEDaS13_S14_EUlS13_E_NS1_11comp_targetILNS1_3genE9ELNS1_11target_archE1100ELNS1_3gpuE3ELNS1_3repE0EEENS1_30default_config_static_selectorELNS0_4arch9wavefront6targetE0EEEvT1_,comdat
.Lfunc_end48:
	.size	_ZN7rocprim17ROCPRIM_400000_NS6detail17trampoline_kernelINS0_14default_configENS1_29reduce_by_key_config_selectorIiiN6thrust23THRUST_200600_302600_NS4plusIiEEEEZZNS1_33reduce_by_key_impl_wrapped_configILNS1_25lookback_scan_determinismE0ES3_S9_NS6_18transform_iteratorI25linear_index_to_row_indexIiENS6_17counting_iteratorIiNS6_11use_defaultESG_SG_EESG_SG_EENS6_6detail15normal_iteratorINS6_10device_ptrIiEEEESN_SN_PmS8_NS6_8equal_toIiEEEE10hipError_tPvRmT2_T3_mT4_T5_T6_T7_T8_P12ihipStream_tbENKUlT_T0_E_clISt17integral_constantIbLb0EES17_IbLb1EEEEDaS13_S14_EUlS13_E_NS1_11comp_targetILNS1_3genE9ELNS1_11target_archE1100ELNS1_3gpuE3ELNS1_3repE0EEENS1_30default_config_static_selectorELNS0_4arch9wavefront6targetE0EEEvT1_, .Lfunc_end48-_ZN7rocprim17ROCPRIM_400000_NS6detail17trampoline_kernelINS0_14default_configENS1_29reduce_by_key_config_selectorIiiN6thrust23THRUST_200600_302600_NS4plusIiEEEEZZNS1_33reduce_by_key_impl_wrapped_configILNS1_25lookback_scan_determinismE0ES3_S9_NS6_18transform_iteratorI25linear_index_to_row_indexIiENS6_17counting_iteratorIiNS6_11use_defaultESG_SG_EESG_SG_EENS6_6detail15normal_iteratorINS6_10device_ptrIiEEEESN_SN_PmS8_NS6_8equal_toIiEEEE10hipError_tPvRmT2_T3_mT4_T5_T6_T7_T8_P12ihipStream_tbENKUlT_T0_E_clISt17integral_constantIbLb0EES17_IbLb1EEEEDaS13_S14_EUlS13_E_NS1_11comp_targetILNS1_3genE9ELNS1_11target_archE1100ELNS1_3gpuE3ELNS1_3repE0EEENS1_30default_config_static_selectorELNS0_4arch9wavefront6targetE0EEEvT1_
                                        ; -- End function
	.set _ZN7rocprim17ROCPRIM_400000_NS6detail17trampoline_kernelINS0_14default_configENS1_29reduce_by_key_config_selectorIiiN6thrust23THRUST_200600_302600_NS4plusIiEEEEZZNS1_33reduce_by_key_impl_wrapped_configILNS1_25lookback_scan_determinismE0ES3_S9_NS6_18transform_iteratorI25linear_index_to_row_indexIiENS6_17counting_iteratorIiNS6_11use_defaultESG_SG_EESG_SG_EENS6_6detail15normal_iteratorINS6_10device_ptrIiEEEESN_SN_PmS8_NS6_8equal_toIiEEEE10hipError_tPvRmT2_T3_mT4_T5_T6_T7_T8_P12ihipStream_tbENKUlT_T0_E_clISt17integral_constantIbLb0EES17_IbLb1EEEEDaS13_S14_EUlS13_E_NS1_11comp_targetILNS1_3genE9ELNS1_11target_archE1100ELNS1_3gpuE3ELNS1_3repE0EEENS1_30default_config_static_selectorELNS0_4arch9wavefront6targetE0EEEvT1_.num_vgpr, 0
	.set _ZN7rocprim17ROCPRIM_400000_NS6detail17trampoline_kernelINS0_14default_configENS1_29reduce_by_key_config_selectorIiiN6thrust23THRUST_200600_302600_NS4plusIiEEEEZZNS1_33reduce_by_key_impl_wrapped_configILNS1_25lookback_scan_determinismE0ES3_S9_NS6_18transform_iteratorI25linear_index_to_row_indexIiENS6_17counting_iteratorIiNS6_11use_defaultESG_SG_EESG_SG_EENS6_6detail15normal_iteratorINS6_10device_ptrIiEEEESN_SN_PmS8_NS6_8equal_toIiEEEE10hipError_tPvRmT2_T3_mT4_T5_T6_T7_T8_P12ihipStream_tbENKUlT_T0_E_clISt17integral_constantIbLb0EES17_IbLb1EEEEDaS13_S14_EUlS13_E_NS1_11comp_targetILNS1_3genE9ELNS1_11target_archE1100ELNS1_3gpuE3ELNS1_3repE0EEENS1_30default_config_static_selectorELNS0_4arch9wavefront6targetE0EEEvT1_.num_agpr, 0
	.set _ZN7rocprim17ROCPRIM_400000_NS6detail17trampoline_kernelINS0_14default_configENS1_29reduce_by_key_config_selectorIiiN6thrust23THRUST_200600_302600_NS4plusIiEEEEZZNS1_33reduce_by_key_impl_wrapped_configILNS1_25lookback_scan_determinismE0ES3_S9_NS6_18transform_iteratorI25linear_index_to_row_indexIiENS6_17counting_iteratorIiNS6_11use_defaultESG_SG_EESG_SG_EENS6_6detail15normal_iteratorINS6_10device_ptrIiEEEESN_SN_PmS8_NS6_8equal_toIiEEEE10hipError_tPvRmT2_T3_mT4_T5_T6_T7_T8_P12ihipStream_tbENKUlT_T0_E_clISt17integral_constantIbLb0EES17_IbLb1EEEEDaS13_S14_EUlS13_E_NS1_11comp_targetILNS1_3genE9ELNS1_11target_archE1100ELNS1_3gpuE3ELNS1_3repE0EEENS1_30default_config_static_selectorELNS0_4arch9wavefront6targetE0EEEvT1_.numbered_sgpr, 0
	.set _ZN7rocprim17ROCPRIM_400000_NS6detail17trampoline_kernelINS0_14default_configENS1_29reduce_by_key_config_selectorIiiN6thrust23THRUST_200600_302600_NS4plusIiEEEEZZNS1_33reduce_by_key_impl_wrapped_configILNS1_25lookback_scan_determinismE0ES3_S9_NS6_18transform_iteratorI25linear_index_to_row_indexIiENS6_17counting_iteratorIiNS6_11use_defaultESG_SG_EESG_SG_EENS6_6detail15normal_iteratorINS6_10device_ptrIiEEEESN_SN_PmS8_NS6_8equal_toIiEEEE10hipError_tPvRmT2_T3_mT4_T5_T6_T7_T8_P12ihipStream_tbENKUlT_T0_E_clISt17integral_constantIbLb0EES17_IbLb1EEEEDaS13_S14_EUlS13_E_NS1_11comp_targetILNS1_3genE9ELNS1_11target_archE1100ELNS1_3gpuE3ELNS1_3repE0EEENS1_30default_config_static_selectorELNS0_4arch9wavefront6targetE0EEEvT1_.num_named_barrier, 0
	.set _ZN7rocprim17ROCPRIM_400000_NS6detail17trampoline_kernelINS0_14default_configENS1_29reduce_by_key_config_selectorIiiN6thrust23THRUST_200600_302600_NS4plusIiEEEEZZNS1_33reduce_by_key_impl_wrapped_configILNS1_25lookback_scan_determinismE0ES3_S9_NS6_18transform_iteratorI25linear_index_to_row_indexIiENS6_17counting_iteratorIiNS6_11use_defaultESG_SG_EESG_SG_EENS6_6detail15normal_iteratorINS6_10device_ptrIiEEEESN_SN_PmS8_NS6_8equal_toIiEEEE10hipError_tPvRmT2_T3_mT4_T5_T6_T7_T8_P12ihipStream_tbENKUlT_T0_E_clISt17integral_constantIbLb0EES17_IbLb1EEEEDaS13_S14_EUlS13_E_NS1_11comp_targetILNS1_3genE9ELNS1_11target_archE1100ELNS1_3gpuE3ELNS1_3repE0EEENS1_30default_config_static_selectorELNS0_4arch9wavefront6targetE0EEEvT1_.private_seg_size, 0
	.set _ZN7rocprim17ROCPRIM_400000_NS6detail17trampoline_kernelINS0_14default_configENS1_29reduce_by_key_config_selectorIiiN6thrust23THRUST_200600_302600_NS4plusIiEEEEZZNS1_33reduce_by_key_impl_wrapped_configILNS1_25lookback_scan_determinismE0ES3_S9_NS6_18transform_iteratorI25linear_index_to_row_indexIiENS6_17counting_iteratorIiNS6_11use_defaultESG_SG_EESG_SG_EENS6_6detail15normal_iteratorINS6_10device_ptrIiEEEESN_SN_PmS8_NS6_8equal_toIiEEEE10hipError_tPvRmT2_T3_mT4_T5_T6_T7_T8_P12ihipStream_tbENKUlT_T0_E_clISt17integral_constantIbLb0EES17_IbLb1EEEEDaS13_S14_EUlS13_E_NS1_11comp_targetILNS1_3genE9ELNS1_11target_archE1100ELNS1_3gpuE3ELNS1_3repE0EEENS1_30default_config_static_selectorELNS0_4arch9wavefront6targetE0EEEvT1_.uses_vcc, 0
	.set _ZN7rocprim17ROCPRIM_400000_NS6detail17trampoline_kernelINS0_14default_configENS1_29reduce_by_key_config_selectorIiiN6thrust23THRUST_200600_302600_NS4plusIiEEEEZZNS1_33reduce_by_key_impl_wrapped_configILNS1_25lookback_scan_determinismE0ES3_S9_NS6_18transform_iteratorI25linear_index_to_row_indexIiENS6_17counting_iteratorIiNS6_11use_defaultESG_SG_EESG_SG_EENS6_6detail15normal_iteratorINS6_10device_ptrIiEEEESN_SN_PmS8_NS6_8equal_toIiEEEE10hipError_tPvRmT2_T3_mT4_T5_T6_T7_T8_P12ihipStream_tbENKUlT_T0_E_clISt17integral_constantIbLb0EES17_IbLb1EEEEDaS13_S14_EUlS13_E_NS1_11comp_targetILNS1_3genE9ELNS1_11target_archE1100ELNS1_3gpuE3ELNS1_3repE0EEENS1_30default_config_static_selectorELNS0_4arch9wavefront6targetE0EEEvT1_.uses_flat_scratch, 0
	.set _ZN7rocprim17ROCPRIM_400000_NS6detail17trampoline_kernelINS0_14default_configENS1_29reduce_by_key_config_selectorIiiN6thrust23THRUST_200600_302600_NS4plusIiEEEEZZNS1_33reduce_by_key_impl_wrapped_configILNS1_25lookback_scan_determinismE0ES3_S9_NS6_18transform_iteratorI25linear_index_to_row_indexIiENS6_17counting_iteratorIiNS6_11use_defaultESG_SG_EESG_SG_EENS6_6detail15normal_iteratorINS6_10device_ptrIiEEEESN_SN_PmS8_NS6_8equal_toIiEEEE10hipError_tPvRmT2_T3_mT4_T5_T6_T7_T8_P12ihipStream_tbENKUlT_T0_E_clISt17integral_constantIbLb0EES17_IbLb1EEEEDaS13_S14_EUlS13_E_NS1_11comp_targetILNS1_3genE9ELNS1_11target_archE1100ELNS1_3gpuE3ELNS1_3repE0EEENS1_30default_config_static_selectorELNS0_4arch9wavefront6targetE0EEEvT1_.has_dyn_sized_stack, 0
	.set _ZN7rocprim17ROCPRIM_400000_NS6detail17trampoline_kernelINS0_14default_configENS1_29reduce_by_key_config_selectorIiiN6thrust23THRUST_200600_302600_NS4plusIiEEEEZZNS1_33reduce_by_key_impl_wrapped_configILNS1_25lookback_scan_determinismE0ES3_S9_NS6_18transform_iteratorI25linear_index_to_row_indexIiENS6_17counting_iteratorIiNS6_11use_defaultESG_SG_EESG_SG_EENS6_6detail15normal_iteratorINS6_10device_ptrIiEEEESN_SN_PmS8_NS6_8equal_toIiEEEE10hipError_tPvRmT2_T3_mT4_T5_T6_T7_T8_P12ihipStream_tbENKUlT_T0_E_clISt17integral_constantIbLb0EES17_IbLb1EEEEDaS13_S14_EUlS13_E_NS1_11comp_targetILNS1_3genE9ELNS1_11target_archE1100ELNS1_3gpuE3ELNS1_3repE0EEENS1_30default_config_static_selectorELNS0_4arch9wavefront6targetE0EEEvT1_.has_recursion, 0
	.set _ZN7rocprim17ROCPRIM_400000_NS6detail17trampoline_kernelINS0_14default_configENS1_29reduce_by_key_config_selectorIiiN6thrust23THRUST_200600_302600_NS4plusIiEEEEZZNS1_33reduce_by_key_impl_wrapped_configILNS1_25lookback_scan_determinismE0ES3_S9_NS6_18transform_iteratorI25linear_index_to_row_indexIiENS6_17counting_iteratorIiNS6_11use_defaultESG_SG_EESG_SG_EENS6_6detail15normal_iteratorINS6_10device_ptrIiEEEESN_SN_PmS8_NS6_8equal_toIiEEEE10hipError_tPvRmT2_T3_mT4_T5_T6_T7_T8_P12ihipStream_tbENKUlT_T0_E_clISt17integral_constantIbLb0EES17_IbLb1EEEEDaS13_S14_EUlS13_E_NS1_11comp_targetILNS1_3genE9ELNS1_11target_archE1100ELNS1_3gpuE3ELNS1_3repE0EEENS1_30default_config_static_selectorELNS0_4arch9wavefront6targetE0EEEvT1_.has_indirect_call, 0
	.section	.AMDGPU.csdata,"",@progbits
; Kernel info:
; codeLenInByte = 0
; TotalNumSgprs: 0
; NumVgprs: 0
; ScratchSize: 0
; MemoryBound: 0
; FloatMode: 240
; IeeeMode: 1
; LDSByteSize: 0 bytes/workgroup (compile time only)
; SGPRBlocks: 0
; VGPRBlocks: 0
; NumSGPRsForWavesPerEU: 1
; NumVGPRsForWavesPerEU: 1
; Occupancy: 16
; WaveLimiterHint : 0
; COMPUTE_PGM_RSRC2:SCRATCH_EN: 0
; COMPUTE_PGM_RSRC2:USER_SGPR: 6
; COMPUTE_PGM_RSRC2:TRAP_HANDLER: 0
; COMPUTE_PGM_RSRC2:TGID_X_EN: 1
; COMPUTE_PGM_RSRC2:TGID_Y_EN: 0
; COMPUTE_PGM_RSRC2:TGID_Z_EN: 0
; COMPUTE_PGM_RSRC2:TIDIG_COMP_CNT: 0
	.section	.text._ZN7rocprim17ROCPRIM_400000_NS6detail17trampoline_kernelINS0_14default_configENS1_29reduce_by_key_config_selectorIiiN6thrust23THRUST_200600_302600_NS4plusIiEEEEZZNS1_33reduce_by_key_impl_wrapped_configILNS1_25lookback_scan_determinismE0ES3_S9_NS6_18transform_iteratorI25linear_index_to_row_indexIiENS6_17counting_iteratorIiNS6_11use_defaultESG_SG_EESG_SG_EENS6_6detail15normal_iteratorINS6_10device_ptrIiEEEESN_SN_PmS8_NS6_8equal_toIiEEEE10hipError_tPvRmT2_T3_mT4_T5_T6_T7_T8_P12ihipStream_tbENKUlT_T0_E_clISt17integral_constantIbLb0EES17_IbLb1EEEEDaS13_S14_EUlS13_E_NS1_11comp_targetILNS1_3genE8ELNS1_11target_archE1030ELNS1_3gpuE2ELNS1_3repE0EEENS1_30default_config_static_selectorELNS0_4arch9wavefront6targetE0EEEvT1_,"axG",@progbits,_ZN7rocprim17ROCPRIM_400000_NS6detail17trampoline_kernelINS0_14default_configENS1_29reduce_by_key_config_selectorIiiN6thrust23THRUST_200600_302600_NS4plusIiEEEEZZNS1_33reduce_by_key_impl_wrapped_configILNS1_25lookback_scan_determinismE0ES3_S9_NS6_18transform_iteratorI25linear_index_to_row_indexIiENS6_17counting_iteratorIiNS6_11use_defaultESG_SG_EESG_SG_EENS6_6detail15normal_iteratorINS6_10device_ptrIiEEEESN_SN_PmS8_NS6_8equal_toIiEEEE10hipError_tPvRmT2_T3_mT4_T5_T6_T7_T8_P12ihipStream_tbENKUlT_T0_E_clISt17integral_constantIbLb0EES17_IbLb1EEEEDaS13_S14_EUlS13_E_NS1_11comp_targetILNS1_3genE8ELNS1_11target_archE1030ELNS1_3gpuE2ELNS1_3repE0EEENS1_30default_config_static_selectorELNS0_4arch9wavefront6targetE0EEEvT1_,comdat
	.protected	_ZN7rocprim17ROCPRIM_400000_NS6detail17trampoline_kernelINS0_14default_configENS1_29reduce_by_key_config_selectorIiiN6thrust23THRUST_200600_302600_NS4plusIiEEEEZZNS1_33reduce_by_key_impl_wrapped_configILNS1_25lookback_scan_determinismE0ES3_S9_NS6_18transform_iteratorI25linear_index_to_row_indexIiENS6_17counting_iteratorIiNS6_11use_defaultESG_SG_EESG_SG_EENS6_6detail15normal_iteratorINS6_10device_ptrIiEEEESN_SN_PmS8_NS6_8equal_toIiEEEE10hipError_tPvRmT2_T3_mT4_T5_T6_T7_T8_P12ihipStream_tbENKUlT_T0_E_clISt17integral_constantIbLb0EES17_IbLb1EEEEDaS13_S14_EUlS13_E_NS1_11comp_targetILNS1_3genE8ELNS1_11target_archE1030ELNS1_3gpuE2ELNS1_3repE0EEENS1_30default_config_static_selectorELNS0_4arch9wavefront6targetE0EEEvT1_ ; -- Begin function _ZN7rocprim17ROCPRIM_400000_NS6detail17trampoline_kernelINS0_14default_configENS1_29reduce_by_key_config_selectorIiiN6thrust23THRUST_200600_302600_NS4plusIiEEEEZZNS1_33reduce_by_key_impl_wrapped_configILNS1_25lookback_scan_determinismE0ES3_S9_NS6_18transform_iteratorI25linear_index_to_row_indexIiENS6_17counting_iteratorIiNS6_11use_defaultESG_SG_EESG_SG_EENS6_6detail15normal_iteratorINS6_10device_ptrIiEEEESN_SN_PmS8_NS6_8equal_toIiEEEE10hipError_tPvRmT2_T3_mT4_T5_T6_T7_T8_P12ihipStream_tbENKUlT_T0_E_clISt17integral_constantIbLb0EES17_IbLb1EEEEDaS13_S14_EUlS13_E_NS1_11comp_targetILNS1_3genE8ELNS1_11target_archE1030ELNS1_3gpuE2ELNS1_3repE0EEENS1_30default_config_static_selectorELNS0_4arch9wavefront6targetE0EEEvT1_
	.globl	_ZN7rocprim17ROCPRIM_400000_NS6detail17trampoline_kernelINS0_14default_configENS1_29reduce_by_key_config_selectorIiiN6thrust23THRUST_200600_302600_NS4plusIiEEEEZZNS1_33reduce_by_key_impl_wrapped_configILNS1_25lookback_scan_determinismE0ES3_S9_NS6_18transform_iteratorI25linear_index_to_row_indexIiENS6_17counting_iteratorIiNS6_11use_defaultESG_SG_EESG_SG_EENS6_6detail15normal_iteratorINS6_10device_ptrIiEEEESN_SN_PmS8_NS6_8equal_toIiEEEE10hipError_tPvRmT2_T3_mT4_T5_T6_T7_T8_P12ihipStream_tbENKUlT_T0_E_clISt17integral_constantIbLb0EES17_IbLb1EEEEDaS13_S14_EUlS13_E_NS1_11comp_targetILNS1_3genE8ELNS1_11target_archE1030ELNS1_3gpuE2ELNS1_3repE0EEENS1_30default_config_static_selectorELNS0_4arch9wavefront6targetE0EEEvT1_
	.p2align	8
	.type	_ZN7rocprim17ROCPRIM_400000_NS6detail17trampoline_kernelINS0_14default_configENS1_29reduce_by_key_config_selectorIiiN6thrust23THRUST_200600_302600_NS4plusIiEEEEZZNS1_33reduce_by_key_impl_wrapped_configILNS1_25lookback_scan_determinismE0ES3_S9_NS6_18transform_iteratorI25linear_index_to_row_indexIiENS6_17counting_iteratorIiNS6_11use_defaultESG_SG_EESG_SG_EENS6_6detail15normal_iteratorINS6_10device_ptrIiEEEESN_SN_PmS8_NS6_8equal_toIiEEEE10hipError_tPvRmT2_T3_mT4_T5_T6_T7_T8_P12ihipStream_tbENKUlT_T0_E_clISt17integral_constantIbLb0EES17_IbLb1EEEEDaS13_S14_EUlS13_E_NS1_11comp_targetILNS1_3genE8ELNS1_11target_archE1030ELNS1_3gpuE2ELNS1_3repE0EEENS1_30default_config_static_selectorELNS0_4arch9wavefront6targetE0EEEvT1_,@function
_ZN7rocprim17ROCPRIM_400000_NS6detail17trampoline_kernelINS0_14default_configENS1_29reduce_by_key_config_selectorIiiN6thrust23THRUST_200600_302600_NS4plusIiEEEEZZNS1_33reduce_by_key_impl_wrapped_configILNS1_25lookback_scan_determinismE0ES3_S9_NS6_18transform_iteratorI25linear_index_to_row_indexIiENS6_17counting_iteratorIiNS6_11use_defaultESG_SG_EESG_SG_EENS6_6detail15normal_iteratorINS6_10device_ptrIiEEEESN_SN_PmS8_NS6_8equal_toIiEEEE10hipError_tPvRmT2_T3_mT4_T5_T6_T7_T8_P12ihipStream_tbENKUlT_T0_E_clISt17integral_constantIbLb0EES17_IbLb1EEEEDaS13_S14_EUlS13_E_NS1_11comp_targetILNS1_3genE8ELNS1_11target_archE1030ELNS1_3gpuE2ELNS1_3repE0EEENS1_30default_config_static_selectorELNS0_4arch9wavefront6targetE0EEEvT1_: ; @_ZN7rocprim17ROCPRIM_400000_NS6detail17trampoline_kernelINS0_14default_configENS1_29reduce_by_key_config_selectorIiiN6thrust23THRUST_200600_302600_NS4plusIiEEEEZZNS1_33reduce_by_key_impl_wrapped_configILNS1_25lookback_scan_determinismE0ES3_S9_NS6_18transform_iteratorI25linear_index_to_row_indexIiENS6_17counting_iteratorIiNS6_11use_defaultESG_SG_EESG_SG_EENS6_6detail15normal_iteratorINS6_10device_ptrIiEEEESN_SN_PmS8_NS6_8equal_toIiEEEE10hipError_tPvRmT2_T3_mT4_T5_T6_T7_T8_P12ihipStream_tbENKUlT_T0_E_clISt17integral_constantIbLb0EES17_IbLb1EEEEDaS13_S14_EUlS13_E_NS1_11comp_targetILNS1_3genE8ELNS1_11target_archE1030ELNS1_3gpuE2ELNS1_3repE0EEENS1_30default_config_static_selectorELNS0_4arch9wavefront6targetE0EEEvT1_
; %bb.0:
	s_clause 0x4
	s_load_dwordx8 s[20:27], s[4:5], 0x0
	s_load_dwordx4 s[28:31], s[4:5], 0x20
	s_load_dwordx8 s[36:43], s[4:5], 0x38
	s_load_dwordx2 s[34:35], s[4:5], 0x68
	s_load_dwordx4 s[44:47], s[4:5], 0x58
	v_cmp_ne_u32_e64 s1, 0, v0
	v_cmp_eq_u32_e64 s0, 0, v0
	s_and_saveexec_b32 s2, s0
	s_cbranch_execz .LBB49_4
; %bb.1:
	s_mov_b32 s6, exec_lo
	s_mov_b32 s3, exec_lo
	v_mbcnt_lo_u32_b32 v1, s6, 0
                                        ; implicit-def: $vgpr2
	v_cmpx_eq_u32_e32 0, v1
	s_cbranch_execz .LBB49_3
; %bb.2:
	s_load_dwordx2 s[4:5], s[4:5], 0x70
	s_bcnt1_i32_b32 s6, s6
	v_mov_b32_e32 v2, 0
	v_mov_b32_e32 v3, s6
	s_waitcnt lgkmcnt(0)
	global_atomic_add v2, v2, v3, s[4:5] glc
.LBB49_3:
	s_or_b32 exec_lo, exec_lo, s3
	s_waitcnt vmcnt(0)
	v_readfirstlane_b32 s3, v2
	v_mov_b32_e32 v2, 0
	v_add_nc_u32_e32 v1, s3, v1
	ds_write_b32 v2, v1
.LBB49_4:
	s_or_b32 exec_lo, exec_lo, s2
	v_mov_b32_e32 v1, 0
	s_waitcnt lgkmcnt(0)
	s_barrier
	buffer_gl0_inv
	s_mul_i32 s4, s40, s39
	ds_read_b32 v1, v1
	s_mul_hi_u32 s6, s40, s38
	s_mul_i32 s8, s40, s38
	s_lshl_b64 s[2:3], s[22:23], 2
	s_add_i32 s17, s22, s20
	s_add_u32 s9, s24, s2
	s_mul_i32 s7, s41, s38
	s_mov_b32 s5, 0
	s_addc_u32 s10, s25, s3
	s_add_i32 s2, s6, s4
	s_waitcnt lgkmcnt(0)
	s_add_i32 s6, s2, s7
	s_barrier
	buffer_gl0_inv
	v_readfirstlane_b32 s40, v1
	s_mul_i32 s4, s40, 0xf00
	s_lshl_b64 s[2:3], s[4:5], 2
	s_add_i32 s17, s17, s4
	s_add_u32 s22, s9, s2
	s_addc_u32 s24, s10, s3
	s_add_u32 s18, s8, s40
	s_addc_u32 s19, s6, 0
	s_add_u32 s2, s42, -1
	s_addc_u32 s3, s43, -1
	s_mul_i32 s33, s2, 0xfffff100
	s_cmp_eq_u64 s[18:19], s[2:3]
	s_cselect_b32 s23, -1, 0
	s_cmp_lg_u64 s[18:19], s[2:3]
	s_cselect_b32 s20, -1, 0
	s_and_b32 vcc_lo, exec_lo, s23
	s_cbranch_vccnz .LBB49_6
; %bb.5:
	s_abs_i32 s6, s21
	v_add_nc_u32_e32 v2, s17, v0
	v_cvt_f32_u32_e32 v1, s6
	s_sub_i32 s2, 0, s6
	s_ashr_i32 s7, s21, 31
	v_lshlrev_b32_e32 v31, 2, v0
	v_sub_nc_u32_e32 v4, 0, v2
	v_rcp_iflag_f32_e32 v1, v1
	v_add_nc_u32_e32 v5, 0x100, v2
	v_sub_nc_u32_e32 v6, 0xffffff00, v2
	v_add_nc_u32_e32 v10, 0x300, v2
	v_sub_nc_u32_e32 v11, 0xfffffd00, v2
	;; [unrolled: 2-line block ×3, first 2 shown]
	v_max_i32_e32 v4, v2, v4
	v_add_nc_u32_e32 v7, 0x200, v2
	v_sub_nc_u32_e32 v9, 0xfffffe00, v2
	v_mul_f32_e32 v1, 0x4f7ffffe, v1
	v_add_nc_u32_e32 v12, 0x400, v2
	v_sub_nc_u32_e32 v13, 0xfffffc00, v2
	v_ashrrev_i32_e32 v16, 31, v5
	v_max_i32_e32 v5, v5, v6
	v_cvt_u32_f32_e32 v1, v1
	v_ashrrev_i32_e32 v6, 31, v7
	v_max_i32_e32 v7, v7, v9
	v_ashrrev_i32_e32 v9, 31, v10
	v_ashrrev_i32_e32 v3, 31, v2
	v_mul_lo_u32 v8, s2, v1
	v_xor_b32_e32 v6, s7, v6
	v_mad_u32_u24 v37, v0, 56, v31
	v_xor_b32_e32 v9, s7, v9
	v_xor_b32_e32 v3, s7, v3
	v_mul_hi_u32 v8, v1, v8
	v_add_nc_u32_e32 v1, v1, v8
	v_max_i32_e32 v8, v10, v11
	v_max_i32_e32 v11, v14, v15
	;; [unrolled: 1-line block ×3, first 2 shown]
	v_xor_b32_e32 v13, s7, v16
	v_mul_hi_u32 v15, v4, v1
	v_mul_hi_u32 v16, v5, v1
	;; [unrolled: 1-line block ×6, first 2 shown]
	v_ashrrev_i32_e32 v14, 31, v14
	v_mul_lo_u32 v21, v15, s6
	v_mul_lo_u32 v23, v16, s6
	;; [unrolled: 1-line block ×3, first 2 shown]
	v_add_nc_u32_e32 v22, 1, v15
	v_mul_lo_u32 v25, v18, s6
	v_add_nc_u32_e32 v27, 1, v16
	v_add_nc_u32_e32 v28, 1, v17
	;; [unrolled: 1-line block ×3, first 2 shown]
	v_sub_nc_u32_e32 v4, v4, v21
	v_sub_nc_u32_e32 v5, v5, v23
	;; [unrolled: 1-line block ×3, first 2 shown]
	v_mul_lo_u32 v26, v19, s6
	v_sub_nc_u32_e32 v8, v8, v25
	v_cmp_le_u32_e32 vcc_lo, s6, v4
	v_subrev_nc_u32_e32 v21, s6, v4
	v_cmp_le_u32_e64 s2, s6, v5
	v_cmp_le_u32_e64 s3, s6, v7
	v_subrev_nc_u32_e32 v23, s6, v7
	v_cndmask_b32_e32 v15, v15, v22, vcc_lo
	v_subrev_nc_u32_e32 v22, s6, v5
	v_cndmask_b32_e32 v4, v4, v21, vcc_lo
	v_cndmask_b32_e64 v16, v16, v27, s2
	v_cndmask_b32_e64 v17, v17, v28, s3
	v_add_nc_u32_e32 v21, 1, v15
	v_cndmask_b32_e64 v5, v5, v22, s2
	v_cmp_le_u32_e32 vcc_lo, s6, v4
	v_cmp_le_u32_e64 s4, s6, v8
	v_subrev_nc_u32_e32 v24, s6, v8
	v_add_nc_u32_e32 v22, 1, v16
	v_cndmask_b32_e64 v7, v7, v23, s3
	v_cndmask_b32_e32 v4, v15, v21, vcc_lo
	v_cmp_le_u32_e32 vcc_lo, s6, v5
	v_cndmask_b32_e64 v18, v18, v29, s4
	v_add_nc_u32_e32 v23, 1, v17
	v_cndmask_b32_e64 v8, v8, v24, s4
	v_xor_b32_e32 v4, v4, v3
	v_cndmask_b32_e32 v5, v16, v22, vcc_lo
	v_cmp_le_u32_e32 vcc_lo, s6, v7
	v_add_nc_u32_e32 v15, 1, v18
	v_mul_lo_u32 v16, v20, s6
	v_sub_nc_u32_e32 v3, v4, v3
	v_xor_b32_e32 v5, v5, v13
	v_cndmask_b32_e32 v7, v17, v23, vcc_lo
	v_cmp_le_u32_e32 vcc_lo, s6, v8
	v_sub_nc_u32_e32 v10, v10, v26
	v_add_nc_u32_e32 v17, 1, v20
	v_sub_nc_u32_e32 v4, v5, v13
	v_add_nc_u32_e32 v13, 0x600, v2
	v_cndmask_b32_e32 v8, v18, v15, vcc_lo
	v_sub_nc_u32_e32 v15, 0xfffffa00, v2
	v_xor_b32_e32 v7, v7, v6
	v_cmp_le_u32_e32 vcc_lo, s6, v10
	v_sub_nc_u32_e32 v11, v11, v16
	v_add_nc_u32_e32 v18, 0x700, v2
	v_max_i32_e32 v15, v13, v15
	v_sub_nc_u32_e32 v5, v7, v6
	v_ashrrev_i32_e32 v6, 31, v12
	v_add_nc_u32_e32 v7, 1, v19
	v_subrev_nc_u32_e32 v12, s6, v10
	v_mul_hi_u32 v16, v15, v1
	v_ashrrev_i32_e32 v13, 31, v13
	v_xor_b32_e32 v6, s7, v6
	v_cndmask_b32_e32 v7, v19, v7, vcc_lo
	v_cndmask_b32_e32 v10, v10, v12, vcc_lo
	v_cmp_le_u32_e32 vcc_lo, s6, v11
	v_sub_nc_u32_e32 v19, 0xfffff900, v2
	v_xor_b32_e32 v13, s7, v13
	v_mul_lo_u32 v21, v16, s6
	v_add_nc_u32_e32 v12, 1, v7
	v_cndmask_b32_e32 v17, v20, v17, vcc_lo
	v_subrev_nc_u32_e32 v20, s6, v11
	v_max_i32_e32 v19, v18, v19
	v_cmp_le_u32_e64 s2, s6, v10
	v_xor_b32_e32 v14, s7, v14
	v_xor_b32_e32 v8, v8, v9
	v_cndmask_b32_e32 v10, v11, v20, vcc_lo
	v_add_nc_u32_e32 v11, 1, v17
	v_cndmask_b32_e64 v7, v7, v12, s2
	v_mul_hi_u32 v12, v19, v1
	v_sub_nc_u32_e32 v15, v15, v21
	v_cmp_le_u32_e32 vcc_lo, s6, v10
	v_sub_nc_u32_e32 v21, 0xfffff700, v2
	v_xor_b32_e32 v7, v7, v6
	v_sub_nc_u32_e32 v8, v8, v9
	v_sub_nc_u32_e32 v23, 0xfffff500, v2
	v_cndmask_b32_e32 v10, v17, v11, vcc_lo
	v_add_nc_u32_e32 v11, 1, v16
	v_subrev_nc_u32_e32 v17, s6, v15
	v_cmp_le_u32_e32 vcc_lo, s6, v15
	v_mul_lo_u32 v20, v12, s6
	v_xor_b32_e32 v10, v10, v14
	v_sub_nc_u32_e32 v6, v7, v6
	v_sub_nc_u32_e32 v24, 0xfffff400, v2
	v_cndmask_b32_e32 v11, v16, v11, vcc_lo
	v_cndmask_b32_e32 v15, v15, v17, vcc_lo
	v_sub_nc_u32_e32 v7, v10, v14
	v_add_nc_u32_e32 v14, 0xa00, v2
	v_sub_nc_u32_e32 v17, v19, v20
	v_add_nc_u32_e32 v16, 1, v11
	v_cmp_le_u32_e32 vcc_lo, s6, v15
	v_add_nc_u32_e32 v19, 0x800, v2
	v_sub_nc_u32_e32 v20, 0xfffff800, v2
	v_add_nc_u32_e32 v15, 1, v12
	v_cndmask_b32_e32 v11, v11, v16, vcc_lo
	v_ashrrev_i32_e32 v16, 31, v18
	v_subrev_nc_u32_e32 v18, s6, v17
	v_cmp_le_u32_e32 vcc_lo, s6, v17
	v_max_i32_e32 v20, v19, v20
	v_xor_b32_e32 v11, v11, v13
	v_xor_b32_e32 v16, s7, v16
	v_cndmask_b32_e32 v12, v12, v15, vcc_lo
	v_add_nc_u32_e32 v15, 0x900, v2
	v_cndmask_b32_e32 v17, v17, v18, vcc_lo
	v_mul_hi_u32 v22, v20, v1
	v_sub_nc_u32_e32 v9, v11, v13
	v_add_nc_u32_e32 v18, 1, v12
	v_max_i32_e32 v21, v15, v21
	v_cmp_le_u32_e32 vcc_lo, s6, v17
	v_ashrrev_i32_e32 v11, 31, v19
	v_ashrrev_i32_e32 v15, 31, v15
	v_mul_lo_u32 v17, v22, s6
	v_cndmask_b32_e32 v12, v12, v18, vcc_lo
	v_mul_hi_u32 v18, v21, v1
	v_add_nc_u32_e32 v19, 1, v22
	v_xor_b32_e32 v11, s7, v11
	v_xor_b32_e32 v15, s7, v15
	;; [unrolled: 1-line block ×3, first 2 shown]
	v_sub_nc_u32_e32 v12, v20, v17
	v_sub_nc_u32_e32 v17, 0xfffff600, v2
	v_mul_lo_u32 v13, v18, s6
	v_sub_nc_u32_e32 v10, v10, v16
	v_cmp_le_u32_e32 vcc_lo, s6, v12
	v_subrev_nc_u32_e32 v20, s6, v12
	v_max_i32_e32 v17, v14, v17
	v_ashrrev_i32_e32 v14, 31, v14
	v_sub_nc_u32_e32 v13, v21, v13
	v_cndmask_b32_e32 v19, v22, v19, vcc_lo
	v_cndmask_b32_e32 v12, v12, v20, vcc_lo
	v_add_nc_u32_e32 v21, 1, v18
	v_mul_hi_u32 v20, v17, v1
	v_cmp_le_u32_e32 vcc_lo, s6, v13
	v_add_nc_u32_e32 v22, 1, v19
	v_cmp_le_u32_e64 s2, s6, v12
	v_xor_b32_e32 v14, s7, v14
	v_cndmask_b32_e32 v18, v18, v21, vcc_lo
	v_subrev_nc_u32_e32 v21, s6, v13
	v_cndmask_b32_e64 v12, v19, v22, s2
	v_mul_lo_u32 v19, v20, s6
	v_add_nc_u32_e32 v22, 0xb00, v2
	v_cndmask_b32_e32 v13, v13, v21, vcc_lo
	v_add_nc_u32_e32 v21, 1, v18
	v_xor_b32_e32 v12, v12, v11
	v_ashrrev_i32_e32 v16, 31, v22
	v_cmp_le_u32_e32 vcc_lo, s6, v13
	v_sub_nc_u32_e32 v17, v17, v19
	v_add_nc_u32_e32 v19, 1, v20
	v_sub_nc_u32_e32 v11, v12, v11
	v_xor_b32_e32 v16, s7, v16
	v_cndmask_b32_e32 v13, v18, v21, vcc_lo
	v_max_i32_e32 v18, v22, v23
	v_subrev_nc_u32_e32 v21, s6, v17
	v_cmp_le_u32_e32 vcc_lo, s6, v17
	v_xor_b32_e32 v13, v13, v15
	v_mul_hi_u32 v23, v18, v1
	v_cndmask_b32_e32 v19, v20, v19, vcc_lo
	v_add_nc_u32_e32 v20, 0xc00, v2
	v_cndmask_b32_e32 v17, v17, v21, vcc_lo
	v_sub_nc_u32_e32 v13, v13, v15
	v_add_nc_u32_e32 v21, 1, v19
	v_max_i32_e32 v24, v20, v24
	v_cmp_le_u32_e32 vcc_lo, s6, v17
	v_mul_lo_u32 v25, v23, s6
	v_mul_hi_u32 v12, v24, v1
	v_cndmask_b32_e32 v17, v19, v21, vcc_lo
	v_add_nc_u32_e32 v19, 0xd00, v2
	v_sub_nc_u32_e32 v21, 0xfffff300, v2
	v_xor_b32_e32 v15, v17, v14
	v_sub_nc_u32_e32 v17, v18, v25
	v_mul_lo_u32 v22, v12, s6
	v_add_nc_u32_e32 v18, 1, v23
	v_max_i32_e32 v21, v19, v21
	v_ashrrev_i32_e32 v19, 31, v19
	v_cmp_le_u32_e32 vcc_lo, s6, v17
	v_subrev_nc_u32_e32 v25, s6, v17
	v_mul_hi_u32 v26, v21, v1
	v_sub_nc_u32_e32 v22, v24, v22
	v_cndmask_b32_e32 v18, v23, v18, vcc_lo
	v_add_nc_u32_e32 v23, 0xe00, v2
	v_sub_nc_u32_e32 v2, 0xfffff200, v2
	v_add_nc_u32_e32 v24, 1, v12
	v_cndmask_b32_e32 v17, v17, v25, vcc_lo
	v_cmp_le_u32_e32 vcc_lo, s6, v22
	v_add_nc_u32_e32 v25, 1, v18
	v_max_i32_e32 v2, v23, v2
	v_mul_lo_u32 v27, v26, s6
	v_cmp_le_u32_e64 s2, s6, v17
	v_cndmask_b32_e32 v12, v12, v24, vcc_lo
	v_subrev_nc_u32_e32 v24, s6, v22
	v_mul_hi_u32 v1, v2, v1
	v_ashrrev_i32_e32 v23, 31, v23
	v_cndmask_b32_e64 v17, v18, v25, s2
	v_ashrrev_i32_e32 v18, 31, v20
	v_cndmask_b32_e32 v20, v22, v24, vcc_lo
	v_add_nc_u32_e32 v22, 1, v12
	v_sub_nc_u32_e32 v21, v21, v27
	v_xor_b32_e32 v19, s7, v19
	v_mul_lo_u32 v24, v1, s6
	v_cmp_le_u32_e32 vcc_lo, s6, v20
	v_add_nc_u32_e32 v20, 1, v26
	v_xor_b32_e32 v18, s7, v18
	v_cndmask_b32_e32 v12, v12, v22, vcc_lo
	v_subrev_nc_u32_e32 v22, s6, v21
	v_sub_nc_u32_e32 v2, v2, v24
	v_cmp_le_u32_e32 vcc_lo, s6, v21
	v_add_nc_u32_e32 v24, 1, v1
	v_xor_b32_e32 v12, v12, v18
	v_subrev_nc_u32_e32 v25, s6, v2
	v_cndmask_b32_e32 v20, v26, v20, vcc_lo
	v_cmp_le_u32_e64 s2, s6, v2
	v_cndmask_b32_e32 v21, v21, v22, vcc_lo
	v_sub_nc_u32_e32 v12, v12, v18
	v_add_nc_u32_e32 v22, 1, v20
	v_cndmask_b32_e64 v1, v1, v24, s2
	v_cndmask_b32_e64 v2, v2, v25, s2
	v_cmp_le_u32_e32 vcc_lo, s6, v21
	v_xor_b32_e32 v21, s7, v23
	v_add_nc_u32_e32 v24, 1, v1
	v_cndmask_b32_e32 v20, v20, v22, vcc_lo
	v_cmp_le_u32_e32 vcc_lo, s6, v2
	v_sub_nc_u32_e32 v2, v15, v14
	v_xor_b32_e32 v14, v17, v16
	v_xor_b32_e32 v15, v20, v19
	v_cndmask_b32_e32 v1, v1, v24, vcc_lo
	v_sub_nc_u32_e32 v14, v14, v16
	v_sub_nc_u32_e32 v15, v15, v19
	v_xor_b32_e32 v1, v1, v21
	ds_write2st64_b32 v31, v3, v4 offset1:4
	ds_write2st64_b32 v31, v5, v8 offset0:8 offset1:12
	ds_write2st64_b32 v31, v6, v7 offset0:16 offset1:20
	;; [unrolled: 1-line block ×6, first 2 shown]
	v_sub_nc_u32_e32 v1, v1, v21
	ds_write_b32 v31, v1 offset:14336
	v_add_co_u32 v1, s2, s22, v31
	v_add_co_ci_u32_e64 v2, null, s24, 0, s2
	s_waitcnt lgkmcnt(0)
	v_add_co_u32 v3, vcc_lo, 0x800, v1
	v_add_co_ci_u32_e64 v4, null, 0, v2, vcc_lo
	v_add_co_u32 v5, vcc_lo, 0x1000, v1
	v_add_co_ci_u32_e64 v6, null, 0, v2, vcc_lo
	v_add_co_u32 v7, vcc_lo, 0x1800, v1
	s_barrier
	buffer_gl0_inv
	ds_read2_b32 v[29:30], v37 offset1:1
	ds_read2_b32 v[27:28], v37 offset0:2 offset1:3
	ds_read2_b32 v[25:26], v37 offset0:4 offset1:5
	ds_read2_b32 v[23:24], v37 offset0:6 offset1:7
	ds_read2_b32 v[21:22], v37 offset0:8 offset1:9
	ds_read2_b32 v[19:20], v37 offset0:10 offset1:11
	ds_read2_b32 v[17:18], v37 offset0:12 offset1:13
	ds_read_b32 v63, v37 offset:56
	s_waitcnt lgkmcnt(0)
	s_barrier
	buffer_gl0_inv
	v_add_co_ci_u32_e64 v8, null, 0, v2, vcc_lo
	s_clause 0x7
	flat_load_dword v9, v[1:2]
	flat_load_dword v10, v[1:2] offset:1024
	flat_load_dword v11, v[3:4]
	flat_load_dword v12, v[3:4] offset:1024
	;; [unrolled: 2-line block ×4, first 2 shown]
	v_add_co_u32 v3, vcc_lo, 0x2000, v1
	v_add_co_ci_u32_e64 v4, null, 0, v2, vcc_lo
	v_add_co_u32 v5, vcc_lo, 0x2800, v1
	v_add_co_ci_u32_e64 v6, null, 0, v2, vcc_lo
	;; [unrolled: 2-line block ×4, first 2 shown]
	s_clause 0x6
	flat_load_dword v32, v[3:4]
	flat_load_dword v3, v[3:4] offset:1024
	flat_load_dword v4, v[5:6]
	flat_load_dword v5, v[5:6] offset:1024
	;; [unrolled: 2-line block ×3, first 2 shown]
	flat_load_dword v1, v[1:2]
	s_waitcnt vmcnt(13) lgkmcnt(13)
	ds_write2st64_b32 v31, v9, v10 offset1:4
	s_waitcnt vmcnt(11) lgkmcnt(12)
	ds_write2st64_b32 v31, v11, v12 offset0:8 offset1:12
	s_waitcnt vmcnt(9) lgkmcnt(11)
	ds_write2st64_b32 v31, v13, v14 offset0:16 offset1:20
	;; [unrolled: 2-line block ×6, first 2 shown]
	s_waitcnt vmcnt(0) lgkmcnt(7)
	ds_write_b32 v31, v1 offset:14336
	s_waitcnt lgkmcnt(0)
	s_barrier
	buffer_gl0_inv
	ds_read2_b32 v[35:36], v37 offset1:1
	ds_read2_b32 v[33:34], v37 offset0:2 offset1:3
	ds_read2_b32 v[31:32], v37 offset0:4 offset1:5
	ds_read2_b32 v[15:16], v37 offset0:6 offset1:7
	ds_read2_b32 v[13:14], v37 offset0:8 offset1:9
	ds_read2_b32 v[11:12], v37 offset0:10 offset1:11
	ds_read2_b32 v[9:10], v37 offset0:12 offset1:13
	ds_read_b32 v79, v37 offset:56
	s_andn2_b32 vcc_lo, exec_lo, s5
	s_add_i32 s33, s33, s44
	s_cbranch_vccz .LBB49_7
	s_branch .LBB49_54
.LBB49_6:
                                        ; implicit-def: $vgpr79
                                        ; implicit-def: $vgpr10
                                        ; implicit-def: $vgpr12
                                        ; implicit-def: $vgpr14
                                        ; implicit-def: $vgpr16
                                        ; implicit-def: $vgpr32
                                        ; implicit-def: $vgpr34
                                        ; implicit-def: $vgpr36
                                        ; implicit-def: $vgpr29
                                        ; implicit-def: $vgpr27
                                        ; implicit-def: $vgpr25
                                        ; implicit-def: $vgpr23
                                        ; implicit-def: $vgpr21
                                        ; implicit-def: $vgpr19
                                        ; implicit-def: $vgpr17
                                        ; implicit-def: $vgpr63
	s_add_i32 s33, s33, s44
.LBB49_7:
	v_cmp_gt_u32_e32 vcc_lo, s33, v0
                                        ; implicit-def: $vgpr1
	s_and_saveexec_b32 s3, vcc_lo
	s_cbranch_execz .LBB49_9
; %bb.8:
	s_abs_i32 s4, s21
	v_add_nc_u32_e32 v3, s17, v0
	v_cvt_f32_u32_e32 v1, s4
	s_sub_i32 s2, 0, s4
	v_sub_nc_u32_e32 v4, 0, v3
	v_rcp_iflag_f32_e32 v1, v1
	v_max_i32_e32 v4, v3, v4
	v_xor_b32_e32 v3, s21, v3
	v_ashrrev_i32_e32 v3, 31, v3
	v_mul_f32_e32 v1, 0x4f7ffffe, v1
	v_cvt_u32_f32_e32 v1, v1
	v_mul_lo_u32 v2, s2, v1
	v_mul_hi_u32 v2, v1, v2
	v_add_nc_u32_e32 v1, v1, v2
	v_mul_hi_u32 v1, v4, v1
	v_mul_lo_u32 v2, v1, s4
	v_sub_nc_u32_e32 v2, v4, v2
	v_add_nc_u32_e32 v4, 1, v1
	v_subrev_nc_u32_e32 v5, s4, v2
	v_cmp_le_u32_e64 s2, s4, v2
	v_cndmask_b32_e64 v1, v1, v4, s2
	v_cndmask_b32_e64 v2, v2, v5, s2
	v_add_nc_u32_e32 v4, 1, v1
	v_cmp_le_u32_e64 s2, s4, v2
	v_cndmask_b32_e64 v1, v1, v4, s2
	v_xor_b32_e32 v1, v1, v3
	v_sub_nc_u32_e32 v1, v1, v3
.LBB49_9:
	s_or_b32 exec_lo, exec_lo, s3
	v_or_b32_e32 v3, 0x100, v0
                                        ; implicit-def: $vgpr2
	v_cmp_gt_u32_e64 s2, s33, v3
	s_and_saveexec_b32 s4, s2
	s_cbranch_execz .LBB49_11
; %bb.10:
	s_abs_i32 s5, s21
	v_add_nc_u32_e32 v3, s17, v3
	v_cvt_f32_u32_e32 v2, s5
	s_sub_i32 s3, 0, s5
	v_sub_nc_u32_e32 v5, 0, v3
	v_rcp_iflag_f32_e32 v2, v2
	v_max_i32_e32 v5, v3, v5
	v_xor_b32_e32 v3, s21, v3
	v_ashrrev_i32_e32 v3, 31, v3
	v_mul_f32_e32 v2, 0x4f7ffffe, v2
	v_cvt_u32_f32_e32 v2, v2
	v_mul_lo_u32 v4, s3, v2
	v_mul_hi_u32 v4, v2, v4
	v_add_nc_u32_e32 v2, v2, v4
	v_mul_hi_u32 v2, v5, v2
	v_mul_lo_u32 v4, v2, s5
	v_sub_nc_u32_e32 v4, v5, v4
	v_add_nc_u32_e32 v5, 1, v2
	v_subrev_nc_u32_e32 v6, s5, v4
	v_cmp_le_u32_e64 s3, s5, v4
	v_cndmask_b32_e64 v2, v2, v5, s3
	v_cndmask_b32_e64 v4, v4, v6, s3
	v_add_nc_u32_e32 v5, 1, v2
	v_cmp_le_u32_e64 s3, s5, v4
	v_cndmask_b32_e64 v2, v2, v5, s3
	v_xor_b32_e32 v2, v2, v3
	v_sub_nc_u32_e32 v2, v2, v3
.LBB49_11:
	s_or_b32 exec_lo, exec_lo, s4
	s_waitcnt lgkmcnt(5)
	v_or_b32_e32 v31, 0x200, v0
                                        ; implicit-def: $vgpr3
	v_cmp_gt_u32_e64 s3, s33, v31
	s_and_saveexec_b32 s5, s3
	s_cbranch_execz .LBB49_13
; %bb.12:
	s_abs_i32 s6, s21
	v_add_nc_u32_e32 v5, s17, v31
	v_cvt_f32_u32_e32 v3, s6
	s_sub_i32 s4, 0, s6
	v_sub_nc_u32_e32 v6, 0, v5
	v_rcp_iflag_f32_e32 v3, v3
	v_max_i32_e32 v6, v5, v6
	v_xor_b32_e32 v5, s21, v5
	v_ashrrev_i32_e32 v5, 31, v5
	v_mul_f32_e32 v3, 0x4f7ffffe, v3
	v_cvt_u32_f32_e32 v3, v3
	v_mul_lo_u32 v4, s4, v3
	v_mul_hi_u32 v4, v3, v4
	v_add_nc_u32_e32 v3, v3, v4
	v_mul_hi_u32 v3, v6, v3
	v_mul_lo_u32 v4, v3, s6
	v_sub_nc_u32_e32 v4, v6, v4
	v_add_nc_u32_e32 v6, 1, v3
	v_subrev_nc_u32_e32 v7, s6, v4
	v_cmp_le_u32_e64 s4, s6, v4
	v_cndmask_b32_e64 v3, v3, v6, s4
	v_cndmask_b32_e64 v4, v4, v7, s4
	v_add_nc_u32_e32 v6, 1, v3
	v_cmp_le_u32_e64 s4, s6, v4
	v_cndmask_b32_e64 v3, v3, v6, s4
	v_xor_b32_e32 v3, v3, v5
	v_sub_nc_u32_e32 v3, v3, v5
.LBB49_13:
	s_or_b32 exec_lo, exec_lo, s5
	v_or_b32_e32 v32, 0x300, v0
                                        ; implicit-def: $vgpr4
	v_cmp_gt_u32_e64 s4, s33, v32
	s_and_saveexec_b32 s6, s4
	s_cbranch_execz .LBB49_15
; %bb.14:
	s_abs_i32 s7, s21
	v_add_nc_u32_e32 v6, s17, v32
	v_cvt_f32_u32_e32 v4, s7
	s_sub_i32 s5, 0, s7
	v_sub_nc_u32_e32 v7, 0, v6
	v_rcp_iflag_f32_e32 v4, v4
	v_max_i32_e32 v7, v6, v7
	v_xor_b32_e32 v6, s21, v6
	v_ashrrev_i32_e32 v6, 31, v6
	v_mul_f32_e32 v4, 0x4f7ffffe, v4
	v_cvt_u32_f32_e32 v4, v4
	v_mul_lo_u32 v5, s5, v4
	v_mul_hi_u32 v5, v4, v5
	v_add_nc_u32_e32 v4, v4, v5
	v_mul_hi_u32 v4, v7, v4
	v_mul_lo_u32 v5, v4, s7
	v_sub_nc_u32_e32 v5, v7, v5
	v_add_nc_u32_e32 v7, 1, v4
	v_subrev_nc_u32_e32 v8, s7, v5
	v_cmp_le_u32_e64 s5, s7, v5
	v_cndmask_b32_e64 v4, v4, v7, s5
	v_cndmask_b32_e64 v5, v5, v8, s5
	v_add_nc_u32_e32 v7, 1, v4
	v_cmp_le_u32_e64 s5, s7, v5
	v_cndmask_b32_e64 v4, v4, v7, s5
	v_xor_b32_e32 v4, v4, v6
	v_sub_nc_u32_e32 v4, v4, v6
.LBB49_15:
	s_or_b32 exec_lo, exec_lo, s6
	v_or_b32_e32 v33, 0x400, v0
                                        ; implicit-def: $vgpr5
	v_cmp_gt_u32_e64 s5, s33, v33
	s_and_saveexec_b32 s7, s5
	s_cbranch_execz .LBB49_17
; %bb.16:
	s_abs_i32 s8, s21
	v_add_nc_u32_e32 v7, s17, v33
	v_cvt_f32_u32_e32 v5, s8
	s_sub_i32 s6, 0, s8
	v_sub_nc_u32_e32 v8, 0, v7
	v_rcp_iflag_f32_e32 v5, v5
	v_max_i32_e32 v8, v7, v8
	v_xor_b32_e32 v7, s21, v7
	v_ashrrev_i32_e32 v7, 31, v7
	v_mul_f32_e32 v5, 0x4f7ffffe, v5
	v_cvt_u32_f32_e32 v5, v5
	v_mul_lo_u32 v6, s6, v5
	v_mul_hi_u32 v6, v5, v6
	v_add_nc_u32_e32 v5, v5, v6
	v_mul_hi_u32 v5, v8, v5
	v_mul_lo_u32 v6, v5, s8
	v_sub_nc_u32_e32 v6, v8, v6
	v_add_nc_u32_e32 v8, 1, v5
	s_waitcnt lgkmcnt(1)
	v_subrev_nc_u32_e32 v9, s8, v6
	v_cmp_le_u32_e64 s6, s8, v6
	v_cndmask_b32_e64 v5, v5, v8, s6
	v_cndmask_b32_e64 v6, v6, v9, s6
	v_add_nc_u32_e32 v8, 1, v5
	v_cmp_le_u32_e64 s6, s8, v6
	v_cndmask_b32_e64 v5, v5, v8, s6
	v_xor_b32_e32 v5, v5, v7
	v_sub_nc_u32_e32 v5, v5, v7
.LBB49_17:
	s_or_b32 exec_lo, exec_lo, s7
	v_or_b32_e32 v34, 0x500, v0
                                        ; implicit-def: $vgpr6
	v_cmp_gt_u32_e64 s6, s33, v34
	s_and_saveexec_b32 s8, s6
	s_cbranch_execz .LBB49_19
; %bb.18:
	s_abs_i32 s9, s21
	v_add_nc_u32_e32 v8, s17, v34
	v_cvt_f32_u32_e32 v6, s9
	s_sub_i32 s7, 0, s9
	s_waitcnt lgkmcnt(1)
	v_sub_nc_u32_e32 v9, 0, v8
	v_rcp_iflag_f32_e32 v6, v6
	v_max_i32_e32 v9, v8, v9
	v_xor_b32_e32 v8, s21, v8
	v_ashrrev_i32_e32 v8, 31, v8
	v_mul_f32_e32 v6, 0x4f7ffffe, v6
	v_cvt_u32_f32_e32 v6, v6
	v_mul_lo_u32 v7, s7, v6
	v_mul_hi_u32 v7, v6, v7
	v_add_nc_u32_e32 v6, v6, v7
	v_mul_hi_u32 v6, v9, v6
	v_mul_lo_u32 v7, v6, s9
	v_sub_nc_u32_e32 v7, v9, v7
	v_add_nc_u32_e32 v9, 1, v6
	v_subrev_nc_u32_e32 v10, s9, v7
	v_cmp_le_u32_e64 s7, s9, v7
	v_cndmask_b32_e64 v6, v6, v9, s7
	v_cndmask_b32_e64 v7, v7, v10, s7
	v_add_nc_u32_e32 v9, 1, v6
	v_cmp_le_u32_e64 s7, s9, v7
	v_cndmask_b32_e64 v6, v6, v9, s7
	v_xor_b32_e32 v6, v6, v8
	v_sub_nc_u32_e32 v6, v6, v8
.LBB49_19:
	s_or_b32 exec_lo, exec_lo, s8
	v_or_b32_e32 v35, 0x600, v0
                                        ; implicit-def: $vgpr7
	v_cmp_gt_u32_e64 s7, s33, v35
	s_and_saveexec_b32 s9, s7
	s_cbranch_execz .LBB49_21
; %bb.20:
	s_abs_i32 s10, s21
	s_waitcnt lgkmcnt(1)
	v_add_nc_u32_e32 v9, s17, v35
	v_cvt_f32_u32_e32 v7, s10
	s_sub_i32 s8, 0, s10
	v_sub_nc_u32_e32 v10, 0, v9
	v_rcp_iflag_f32_e32 v7, v7
	v_max_i32_e32 v10, v9, v10
	v_xor_b32_e32 v9, s21, v9
	v_ashrrev_i32_e32 v9, 31, v9
	v_mul_f32_e32 v7, 0x4f7ffffe, v7
	v_cvt_u32_f32_e32 v7, v7
	v_mul_lo_u32 v8, s8, v7
	v_mul_hi_u32 v8, v7, v8
	v_add_nc_u32_e32 v7, v7, v8
	v_mul_hi_u32 v7, v10, v7
	v_mul_lo_u32 v8, v7, s10
	v_sub_nc_u32_e32 v8, v10, v8
	v_add_nc_u32_e32 v10, 1, v7
	v_subrev_nc_u32_e32 v11, s10, v8
	v_cmp_le_u32_e64 s8, s10, v8
	v_cndmask_b32_e64 v7, v7, v10, s8
	v_cndmask_b32_e64 v8, v8, v11, s8
	v_add_nc_u32_e32 v10, 1, v7
	v_cmp_le_u32_e64 s8, s10, v8
	v_cndmask_b32_e64 v7, v7, v10, s8
	v_xor_b32_e32 v7, v7, v9
	v_sub_nc_u32_e32 v7, v7, v9
.LBB49_21:
	s_or_b32 exec_lo, exec_lo, s9
	v_or_b32_e32 v36, 0x700, v0
                                        ; implicit-def: $vgpr8
	v_cmp_gt_u32_e64 s8, s33, v36
	s_and_saveexec_b32 s10, s8
	s_cbranch_execz .LBB49_23
; %bb.22:
	s_abs_i32 s11, s21
	s_waitcnt lgkmcnt(1)
	v_add_nc_u32_e32 v10, s17, v36
	v_cvt_f32_u32_e32 v8, s11
	s_sub_i32 s9, 0, s11
	v_sub_nc_u32_e32 v11, 0, v10
	v_rcp_iflag_f32_e32 v8, v8
	v_max_i32_e32 v11, v10, v11
	v_xor_b32_e32 v10, s21, v10
	v_ashrrev_i32_e32 v10, 31, v10
	v_mul_f32_e32 v8, 0x4f7ffffe, v8
	v_cvt_u32_f32_e32 v8, v8
	v_mul_lo_u32 v9, s9, v8
	v_mul_hi_u32 v9, v8, v9
	v_add_nc_u32_e32 v8, v8, v9
	v_mul_hi_u32 v8, v11, v8
	v_mul_lo_u32 v9, v8, s11
	v_sub_nc_u32_e32 v9, v11, v9
	v_add_nc_u32_e32 v11, 1, v8
	v_subrev_nc_u32_e32 v12, s11, v9
	v_cmp_le_u32_e64 s9, s11, v9
	v_cndmask_b32_e64 v8, v8, v11, s9
	v_cndmask_b32_e64 v9, v9, v12, s9
	v_add_nc_u32_e32 v11, 1, v8
	v_cmp_le_u32_e64 s9, s11, v9
	v_cndmask_b32_e64 v8, v8, v11, s9
	v_xor_b32_e32 v8, v8, v10
	v_sub_nc_u32_e32 v8, v8, v10
.LBB49_23:
	s_or_b32 exec_lo, exec_lo, s10
	v_or_b32_e32 v37, 0x800, v0
                                        ; implicit-def: $vgpr9
	v_cmp_gt_u32_e64 s9, s33, v37
	s_and_saveexec_b32 s11, s9
	s_cbranch_execz .LBB49_25
; %bb.24:
	s_abs_i32 s12, s21
	s_waitcnt lgkmcnt(2)
	v_add_nc_u32_e32 v11, s17, v37
	s_waitcnt lgkmcnt(1)
	v_cvt_f32_u32_e32 v9, s12
	s_sub_i32 s10, 0, s12
	v_sub_nc_u32_e32 v12, 0, v11
	v_rcp_iflag_f32_e32 v9, v9
	v_max_i32_e32 v12, v11, v12
	v_xor_b32_e32 v11, s21, v11
	v_ashrrev_i32_e32 v11, 31, v11
	v_mul_f32_e32 v9, 0x4f7ffffe, v9
	v_cvt_u32_f32_e32 v9, v9
	v_mul_lo_u32 v10, s10, v9
	v_mul_hi_u32 v10, v9, v10
	v_add_nc_u32_e32 v9, v9, v10
	v_mul_hi_u32 v9, v12, v9
	v_mul_lo_u32 v10, v9, s12
	v_sub_nc_u32_e32 v10, v12, v10
	v_add_nc_u32_e32 v12, 1, v9
	v_subrev_nc_u32_e32 v13, s12, v10
	v_cmp_le_u32_e64 s10, s12, v10
	v_cndmask_b32_e64 v9, v9, v12, s10
	v_cndmask_b32_e64 v10, v10, v13, s10
	v_add_nc_u32_e32 v12, 1, v9
	v_cmp_le_u32_e64 s10, s12, v10
	v_cndmask_b32_e64 v9, v9, v12, s10
	v_xor_b32_e32 v9, v9, v11
	v_sub_nc_u32_e32 v9, v9, v11
.LBB49_25:
	s_or_b32 exec_lo, exec_lo, s11
	v_or_b32_e32 v38, 0x900, v0
                                        ; implicit-def: $vgpr10
	v_cmp_gt_u32_e64 s10, s33, v38
	s_and_saveexec_b32 s12, s10
	s_cbranch_execz .LBB49_27
; %bb.26:
	s_abs_i32 s13, s21
	s_waitcnt lgkmcnt(2)
	v_add_nc_u32_e32 v12, s17, v38
	s_waitcnt lgkmcnt(1)
	v_cvt_f32_u32_e32 v10, s13
	s_sub_i32 s11, 0, s13
	v_sub_nc_u32_e32 v13, 0, v12
	v_rcp_iflag_f32_e32 v10, v10
	v_max_i32_e32 v13, v12, v13
	v_xor_b32_e32 v12, s21, v12
	v_ashrrev_i32_e32 v12, 31, v12
	v_mul_f32_e32 v10, 0x4f7ffffe, v10
	v_cvt_u32_f32_e32 v10, v10
	v_mul_lo_u32 v11, s11, v10
	v_mul_hi_u32 v11, v10, v11
	v_add_nc_u32_e32 v10, v10, v11
	v_mul_hi_u32 v10, v13, v10
	v_mul_lo_u32 v11, v10, s13
	v_sub_nc_u32_e32 v11, v13, v11
	v_add_nc_u32_e32 v13, 1, v10
	v_subrev_nc_u32_e32 v14, s13, v11
	v_cmp_le_u32_e64 s11, s13, v11
	v_cndmask_b32_e64 v10, v10, v13, s11
	v_cndmask_b32_e64 v11, v11, v14, s11
	v_add_nc_u32_e32 v13, 1, v10
	v_cmp_le_u32_e64 s11, s13, v11
	v_cndmask_b32_e64 v10, v10, v13, s11
	v_xor_b32_e32 v10, v10, v12
	v_sub_nc_u32_e32 v10, v10, v12
.LBB49_27:
	s_or_b32 exec_lo, exec_lo, s12
	v_or_b32_e32 v39, 0xa00, v0
                                        ; implicit-def: $vgpr11
	v_cmp_gt_u32_e64 s11, s33, v39
	s_and_saveexec_b32 s13, s11
	s_cbranch_execz .LBB49_29
; %bb.28:
	s_abs_i32 s14, s21
	s_waitcnt lgkmcnt(3)
	v_add_nc_u32_e32 v13, s17, v39
	s_waitcnt lgkmcnt(2)
	v_cvt_f32_u32_e32 v11, s14
	s_sub_i32 s12, 0, s14
	v_sub_nc_u32_e32 v14, 0, v13
	v_rcp_iflag_f32_e32 v11, v11
	v_max_i32_e32 v14, v13, v14
	v_xor_b32_e32 v13, s21, v13
	v_ashrrev_i32_e32 v13, 31, v13
	v_mul_f32_e32 v11, 0x4f7ffffe, v11
	v_cvt_u32_f32_e32 v11, v11
	v_mul_lo_u32 v12, s12, v11
	v_mul_hi_u32 v12, v11, v12
	v_add_nc_u32_e32 v11, v11, v12
	v_mul_hi_u32 v11, v14, v11
	v_mul_lo_u32 v12, v11, s14
	v_sub_nc_u32_e32 v12, v14, v12
	v_add_nc_u32_e32 v14, 1, v11
	v_subrev_nc_u32_e32 v15, s14, v12
	v_cmp_le_u32_e64 s12, s14, v12
	v_cndmask_b32_e64 v11, v11, v14, s12
	v_cndmask_b32_e64 v12, v12, v15, s12
	v_add_nc_u32_e32 v14, 1, v11
	v_cmp_le_u32_e64 s12, s14, v12
	v_cndmask_b32_e64 v11, v11, v14, s12
	v_xor_b32_e32 v11, v11, v13
	v_sub_nc_u32_e32 v11, v11, v13
.LBB49_29:
	s_or_b32 exec_lo, exec_lo, s13
	v_or_b32_e32 v40, 0xb00, v0
                                        ; implicit-def: $vgpr12
	v_cmp_gt_u32_e64 s12, s33, v40
	s_and_saveexec_b32 s14, s12
	s_cbranch_execz .LBB49_31
; %bb.30:
	s_abs_i32 s15, s21
	s_waitcnt lgkmcnt(3)
	v_add_nc_u32_e32 v14, s17, v40
	s_waitcnt lgkmcnt(2)
	v_cvt_f32_u32_e32 v12, s15
	s_sub_i32 s13, 0, s15
	v_sub_nc_u32_e32 v15, 0, v14
	v_rcp_iflag_f32_e32 v12, v12
	v_max_i32_e32 v15, v14, v15
	v_xor_b32_e32 v14, s21, v14
	v_ashrrev_i32_e32 v14, 31, v14
	v_mul_f32_e32 v12, 0x4f7ffffe, v12
	v_cvt_u32_f32_e32 v12, v12
	v_mul_lo_u32 v13, s13, v12
	v_mul_hi_u32 v13, v12, v13
	v_add_nc_u32_e32 v12, v12, v13
	v_mul_hi_u32 v12, v15, v12
	v_mul_lo_u32 v13, v12, s15
	v_sub_nc_u32_e32 v13, v15, v13
	v_add_nc_u32_e32 v15, 1, v12
	v_subrev_nc_u32_e32 v16, s15, v13
	v_cmp_le_u32_e64 s13, s15, v13
	v_cndmask_b32_e64 v12, v12, v15, s13
	v_cndmask_b32_e64 v13, v13, v16, s13
	v_add_nc_u32_e32 v15, 1, v12
	v_cmp_le_u32_e64 s13, s15, v13
	v_cndmask_b32_e64 v12, v12, v15, s13
	v_xor_b32_e32 v12, v12, v14
	v_sub_nc_u32_e32 v12, v12, v14
.LBB49_31:
	s_or_b32 exec_lo, exec_lo, s14
	v_or_b32_e32 v41, 0xc00, v0
                                        ; implicit-def: $vgpr13
	v_cmp_gt_u32_e64 s13, s33, v41
	s_and_saveexec_b32 s15, s13
	s_cbranch_execz .LBB49_33
; %bb.32:
	s_abs_i32 s16, s21
	s_waitcnt lgkmcnt(4)
	v_add_nc_u32_e32 v15, s17, v41
	s_waitcnt lgkmcnt(3)
	v_cvt_f32_u32_e32 v13, s16
	s_sub_i32 s14, 0, s16
	v_sub_nc_u32_e32 v16, 0, v15
	v_rcp_iflag_f32_e32 v13, v13
	v_max_i32_e32 v16, v15, v16
	v_xor_b32_e32 v15, s21, v15
	v_ashrrev_i32_e32 v15, 31, v15
	v_mul_f32_e32 v13, 0x4f7ffffe, v13
	v_cvt_u32_f32_e32 v13, v13
	v_mul_lo_u32 v14, s14, v13
	v_mul_hi_u32 v14, v13, v14
	v_add_nc_u32_e32 v13, v13, v14
	v_mul_hi_u32 v13, v16, v13
	v_mul_lo_u32 v14, v13, s16
	v_sub_nc_u32_e32 v14, v16, v14
	v_add_nc_u32_e32 v16, 1, v13
	v_subrev_nc_u32_e32 v17, s16, v14
	v_cmp_le_u32_e64 s14, s16, v14
	v_cndmask_b32_e64 v13, v13, v16, s14
	v_cndmask_b32_e64 v14, v14, v17, s14
	v_add_nc_u32_e32 v16, 1, v13
	v_cmp_le_u32_e64 s14, s16, v14
	v_cndmask_b32_e64 v13, v13, v16, s14
	v_xor_b32_e32 v13, v13, v15
	v_sub_nc_u32_e32 v13, v13, v15
.LBB49_33:
	s_or_b32 exec_lo, exec_lo, s15
	v_or_b32_e32 v42, 0xd00, v0
                                        ; implicit-def: $vgpr14
	v_cmp_gt_u32_e64 s14, s33, v42
	s_and_saveexec_b32 s16, s14
	s_cbranch_execz .LBB49_35
; %bb.34:
	s_abs_i32 s25, s21
	s_waitcnt lgkmcnt(4)
	v_add_nc_u32_e32 v16, s17, v42
	s_waitcnt lgkmcnt(3)
	v_cvt_f32_u32_e32 v14, s25
	s_sub_i32 s15, 0, s25
	v_sub_nc_u32_e32 v17, 0, v16
	v_rcp_iflag_f32_e32 v14, v14
	v_max_i32_e32 v17, v16, v17
	v_xor_b32_e32 v16, s21, v16
	v_ashrrev_i32_e32 v16, 31, v16
	v_mul_f32_e32 v14, 0x4f7ffffe, v14
	v_cvt_u32_f32_e32 v14, v14
	v_mul_lo_u32 v15, s15, v14
	v_mul_hi_u32 v15, v14, v15
	v_add_nc_u32_e32 v14, v14, v15
	v_mul_hi_u32 v14, v17, v14
	v_mul_lo_u32 v15, v14, s25
	v_sub_nc_u32_e32 v15, v17, v15
	v_add_nc_u32_e32 v17, 1, v14
	v_subrev_nc_u32_e32 v18, s25, v15
	v_cmp_le_u32_e64 s15, s25, v15
	v_cndmask_b32_e64 v14, v14, v17, s15
	v_cndmask_b32_e64 v15, v15, v18, s15
	v_add_nc_u32_e32 v17, 1, v14
	v_cmp_le_u32_e64 s15, s25, v15
	v_cndmask_b32_e64 v14, v14, v17, s15
	v_xor_b32_e32 v14, v14, v16
	v_sub_nc_u32_e32 v14, v14, v16
.LBB49_35:
	s_or_b32 exec_lo, exec_lo, s16
	v_or_b32_e32 v44, 0xe00, v0
                                        ; implicit-def: $vgpr15
	v_cmp_gt_u32_e64 s15, s33, v44
	s_and_saveexec_b32 s25, s15
	s_cbranch_execz .LBB49_37
; %bb.36:
	s_abs_i32 s41, s21
	v_add_nc_u32_e32 v17, s17, v44
	s_waitcnt lgkmcnt(4)
	v_cvt_f32_u32_e32 v15, s41
	s_sub_i32 s16, 0, s41
	v_sub_nc_u32_e32 v18, 0, v17
	v_rcp_iflag_f32_e32 v15, v15
	v_max_i32_e32 v18, v17, v18
	v_xor_b32_e32 v17, s21, v17
	v_ashrrev_i32_e32 v17, 31, v17
	v_mul_f32_e32 v15, 0x4f7ffffe, v15
	v_cvt_u32_f32_e32 v15, v15
	v_mul_lo_u32 v16, s16, v15
	v_mul_hi_u32 v16, v15, v16
	v_add_nc_u32_e32 v15, v15, v16
	v_mul_hi_u32 v15, v18, v15
	v_mul_lo_u32 v16, v15, s41
	v_sub_nc_u32_e32 v16, v18, v16
	v_add_nc_u32_e32 v18, 1, v15
	v_subrev_nc_u32_e32 v19, s41, v16
	v_cmp_le_u32_e64 s16, s41, v16
	v_cndmask_b32_e64 v15, v15, v18, s16
	v_cndmask_b32_e64 v16, v16, v19, s16
	v_add_nc_u32_e32 v18, 1, v15
	v_cmp_le_u32_e64 s16, s41, v16
	v_cndmask_b32_e64 v15, v15, v18, s16
	v_xor_b32_e32 v15, v15, v17
	v_sub_nc_u32_e32 v15, v15, v17
.LBB49_37:
	s_or_b32 exec_lo, exec_lo, s25
	v_lshlrev_b32_e32 v43, 2, v0
	ds_write2st64_b32 v43, v1, v2 offset1:4
	ds_write2st64_b32 v43, v3, v4 offset0:8 offset1:12
	ds_write2st64_b32 v43, v5, v6 offset0:16 offset1:20
	ds_write2st64_b32 v43, v7, v8 offset0:24 offset1:28
	s_waitcnt lgkmcnt(5)
	ds_write2st64_b32 v43, v9, v10 offset0:32 offset1:36
	ds_write2st64_b32 v43, v11, v12 offset0:40 offset1:44
	;; [unrolled: 1-line block ×3, first 2 shown]
	v_mad_u32_u24 v2, v0, 56, v43
	ds_write_b32 v43, v15 offset:14336
	s_waitcnt lgkmcnt(0)
	s_barrier
	buffer_gl0_inv
	ds_read2_b32 v[29:30], v2 offset1:1
	ds_read2_b32 v[27:28], v2 offset0:2 offset1:3
	ds_read2_b32 v[25:26], v2 offset0:4 offset1:5
	;; [unrolled: 1-line block ×6, first 2 shown]
	ds_read_b32 v63, v2 offset:56
	v_mov_b32_e32 v1, 0
	s_waitcnt lgkmcnt(0)
	s_barrier
	buffer_gl0_inv
	v_mov_b32_e32 v2, v1
	v_mov_b32_e32 v3, v1
	;; [unrolled: 1-line block ×14, first 2 shown]
	s_and_saveexec_b32 s16, vcc_lo
	s_cbranch_execnz .LBB49_60
; %bb.38:
	s_or_b32 exec_lo, exec_lo, s16
	s_and_saveexec_b32 s16, s2
	s_cbranch_execnz .LBB49_61
.LBB49_39:
	s_or_b32 exec_lo, exec_lo, s16
	s_and_saveexec_b32 s2, s3
	s_cbranch_execnz .LBB49_62
.LBB49_40:
	s_or_b32 exec_lo, exec_lo, s2
	s_and_saveexec_b32 s2, s4
	s_cbranch_execnz .LBB49_63
.LBB49_41:
	s_or_b32 exec_lo, exec_lo, s2
	s_and_saveexec_b32 s2, s5
	s_cbranch_execnz .LBB49_64
.LBB49_42:
	s_or_b32 exec_lo, exec_lo, s2
	s_and_saveexec_b32 s2, s6
	s_cbranch_execnz .LBB49_65
.LBB49_43:
	s_or_b32 exec_lo, exec_lo, s2
	s_and_saveexec_b32 s2, s7
	s_cbranch_execnz .LBB49_66
.LBB49_44:
	s_or_b32 exec_lo, exec_lo, s2
	s_and_saveexec_b32 s2, s8
	s_cbranch_execnz .LBB49_67
.LBB49_45:
	s_or_b32 exec_lo, exec_lo, s2
	s_and_saveexec_b32 s2, s9
	s_cbranch_execnz .LBB49_68
.LBB49_46:
	s_or_b32 exec_lo, exec_lo, s2
	s_and_saveexec_b32 s2, s10
	s_cbranch_execnz .LBB49_69
.LBB49_47:
	s_or_b32 exec_lo, exec_lo, s2
	s_and_saveexec_b32 s2, s11
	s_cbranch_execnz .LBB49_70
.LBB49_48:
	s_or_b32 exec_lo, exec_lo, s2
	s_and_saveexec_b32 s2, s12
	s_cbranch_execnz .LBB49_71
.LBB49_49:
	s_or_b32 exec_lo, exec_lo, s2
	s_and_saveexec_b32 s2, s13
	s_cbranch_execnz .LBB49_72
.LBB49_50:
	s_or_b32 exec_lo, exec_lo, s2
	s_and_saveexec_b32 s2, s14
	s_cbranch_execnz .LBB49_73
.LBB49_51:
	s_or_b32 exec_lo, exec_lo, s2
	v_mul_u32_u24_e32 v16, 56, v0
	s_and_saveexec_b32 s2, s15
	s_cbranch_execz .LBB49_53
.LBB49_52:
	v_lshlrev_b32_e32 v15, 2, v44
	v_add_co_u32 v31, s3, s22, v15
	v_add_co_ci_u32_e64 v32, null, s24, 0, s3
	flat_load_dword v15, v[31:32]
.LBB49_53:
	s_or_b32 exec_lo, exec_lo, s2
	s_waitcnt vmcnt(0) lgkmcnt(0)
	ds_write2st64_b32 v43, v1, v2 offset1:4
	ds_write2st64_b32 v43, v3, v4 offset0:8 offset1:12
	ds_write2st64_b32 v43, v5, v6 offset0:16 offset1:20
	;; [unrolled: 1-line block ×6, first 2 shown]
	v_add_nc_u32_e32 v1, v43, v16
	ds_write_b32 v43, v15 offset:14336
	s_waitcnt lgkmcnt(0)
	s_barrier
	buffer_gl0_inv
	ds_read2_b32 v[35:36], v1 offset1:1
	ds_read2_b32 v[33:34], v1 offset0:2 offset1:3
	ds_read2_b32 v[31:32], v1 offset0:4 offset1:5
	;; [unrolled: 1-line block ×6, first 2 shown]
	ds_read_b32 v79, v1 offset:56
.LBB49_54:
	s_cmp_eq_u64 s[18:19], 0
	s_waitcnt lgkmcnt(0)
	s_cselect_b32 s41, -1, 0
	s_cmp_lg_u64 s[18:19], 0
	s_barrier
	s_cselect_b32 s16, -1, 0
	s_and_b32 vcc_lo, exec_lo, s20
	buffer_gl0_inv
	s_cbranch_vccz .LBB49_59
; %bb.55:
	s_and_b32 vcc_lo, exec_lo, s16
	s_cbranch_vccz .LBB49_74
; %bb.56:
	s_abs_i32 s10, s21
	s_add_i32 s9, s17, -1
	v_cvt_f32_u32_e32 v1, s10
	s_sub_i32 s7, 0, s10
	s_sub_i32 s8, 1, s17
	v_cmp_ne_u32_e64 s2, v17, v18
	s_max_i32 s13, s9, s8
	v_rcp_iflag_f32_e32 v1, v1
	s_xor_b32 s9, s9, s21
	v_cmp_ne_u32_e64 s3, v20, v17
	s_ashr_i32 s14, s9, 31
	v_cmp_ne_u32_e64 s4, v19, v20
	v_cmp_ne_u32_e64 s5, v22, v19
	;; [unrolled: 1-line block ×5, first 2 shown]
	s_mov_b32 s42, -1
	v_mul_f32_e32 v1, 0x4f7ffffe, v1
	s_mov_b32 s20, 0
	v_cmp_ne_u32_e32 vcc_lo, v18, v63
	v_cvt_u32_f32_e32 v2, v1
	v_lshlrev_b32_e32 v1, 2, v0
	v_readfirstlane_b32 s11, v2
	ds_write_b32 v1, v63
	s_waitcnt lgkmcnt(0)
	s_barrier
	buffer_gl0_inv
	s_mul_i32 s12, s7, s11
	v_cmp_ne_u32_e64 s7, v24, v21
	s_mul_hi_u32 s12, s11, s12
	s_add_i32 s11, s11, s12
	s_mul_hi_u32 s11, s13, s11
	s_mul_i32 s12, s11, s10
	s_sub_i32 s12, s13, s12
	s_add_i32 s13, s11, 1
	s_sub_i32 s15, s12, s10
	s_cmp_ge_u32 s12, s10
	s_cselect_b32 s11, s13, s11
	s_cselect_b32 s12, s15, s12
	s_add_i32 s13, s11, 1
	s_cmp_ge_u32 s12, s10
	v_cmp_ne_u32_e64 s10, v25, v26
	s_cselect_b32 s12, s13, s11
	v_cmp_ne_u32_e64 s11, v28, v25
	s_xor_b32 s13, s12, s14
	v_cmp_ne_u32_e64 s12, v27, v28
	s_sub_i32 s15, s13, s14
	v_cmp_ne_u32_e64 s13, v30, v27
	v_cmp_ne_u32_e64 s14, v29, v30
	v_mov_b32_e32 v2, s15
	s_and_saveexec_b32 s15, s1
; %bb.57:
	v_add_nc_u32_e32 v1, -4, v1
	ds_read_b32 v2, v1
; %bb.58:
	s_or_b32 exec_lo, exec_lo, s15
	v_cndmask_b32_e64 v72, 0, 1, vcc_lo
	v_cndmask_b32_e64 v64, 0, 1, s2
	v_cndmask_b32_e64 v65, 0, 1, s3
	;; [unrolled: 1-line block ×13, first 2 shown]
	s_waitcnt lgkmcnt(0)
	v_cmp_ne_u32_e64 s15, v2, v29
	s_and_b32 vcc_lo, exec_lo, s20
	s_cbranch_vccnz .LBB49_75
	s_branch .LBB49_78
.LBB49_59:
	s_mov_b32 s42, 0
                                        ; implicit-def: $sgpr15
                                        ; implicit-def: $vgpr72
                                        ; implicit-def: $vgpr64
                                        ; implicit-def: $vgpr65
                                        ; implicit-def: $vgpr66
                                        ; implicit-def: $vgpr67
                                        ; implicit-def: $vgpr68
                                        ; implicit-def: $vgpr69
                                        ; implicit-def: $vgpr70
                                        ; implicit-def: $vgpr71
                                        ; implicit-def: $vgpr73
                                        ; implicit-def: $vgpr74
                                        ; implicit-def: $vgpr75
                                        ; implicit-def: $vgpr76
                                        ; implicit-def: $vgpr77
	s_cbranch_execnz .LBB49_79
	s_branch .LBB49_87
.LBB49_60:
	v_add_co_u32 v2, s25, s22, v43
	v_add_co_ci_u32_e64 v3, null, s24, 0, s25
	v_mov_b32_e32 v4, v1
	v_mov_b32_e32 v5, v1
	;; [unrolled: 1-line block ×3, first 2 shown]
	flat_load_dword v2, v[2:3]
	v_mov_b32_e32 v3, v1
	v_mov_b32_e32 v7, v1
	;; [unrolled: 1-line block ×11, first 2 shown]
	s_waitcnt vmcnt(0) lgkmcnt(0)
	v_mov_b32_e32 v1, v2
	v_mov_b32_e32 v2, v3
	;; [unrolled: 1-line block ×16, first 2 shown]
	s_or_b32 exec_lo, exec_lo, s16
	s_and_saveexec_b32 s16, s2
	s_cbranch_execz .LBB49_39
.LBB49_61:
	v_add_co_u32 v45, s2, s22, v43
	v_add_co_ci_u32_e64 v46, null, s24, 0, s2
	flat_load_dword v2, v[45:46] offset:1024
	s_or_b32 exec_lo, exec_lo, s16
	s_and_saveexec_b32 s2, s3
	s_cbranch_execz .LBB49_40
.LBB49_62:
	v_lshlrev_b32_e32 v3, 2, v31
	v_add_co_u32 v45, s3, s22, v3
	v_add_co_ci_u32_e64 v46, null, s24, 0, s3
	flat_load_dword v3, v[45:46]
	s_or_b32 exec_lo, exec_lo, s2
	s_and_saveexec_b32 s2, s4
	s_cbranch_execz .LBB49_41
.LBB49_63:
	v_lshlrev_b32_e32 v4, 2, v32
	v_add_co_u32 v31, s3, s22, v4
	v_add_co_ci_u32_e64 v32, null, s24, 0, s3
	flat_load_dword v4, v[31:32]
	s_or_b32 exec_lo, exec_lo, s2
	s_and_saveexec_b32 s2, s5
	s_cbranch_execz .LBB49_42
.LBB49_64:
	v_lshlrev_b32_e32 v5, 2, v33
	v_add_co_u32 v31, s3, s22, v5
	v_add_co_ci_u32_e64 v32, null, s24, 0, s3
	flat_load_dword v5, v[31:32]
	s_or_b32 exec_lo, exec_lo, s2
	s_and_saveexec_b32 s2, s6
	s_cbranch_execz .LBB49_43
.LBB49_65:
	v_lshlrev_b32_e32 v6, 2, v34
	v_add_co_u32 v31, s3, s22, v6
	v_add_co_ci_u32_e64 v32, null, s24, 0, s3
	flat_load_dword v6, v[31:32]
	s_or_b32 exec_lo, exec_lo, s2
	s_and_saveexec_b32 s2, s7
	s_cbranch_execz .LBB49_44
.LBB49_66:
	v_lshlrev_b32_e32 v7, 2, v35
	v_add_co_u32 v31, s3, s22, v7
	v_add_co_ci_u32_e64 v32, null, s24, 0, s3
	flat_load_dword v7, v[31:32]
	s_or_b32 exec_lo, exec_lo, s2
	s_and_saveexec_b32 s2, s8
	s_cbranch_execz .LBB49_45
.LBB49_67:
	v_lshlrev_b32_e32 v8, 2, v36
	v_add_co_u32 v31, s3, s22, v8
	v_add_co_ci_u32_e64 v32, null, s24, 0, s3
	flat_load_dword v8, v[31:32]
	s_or_b32 exec_lo, exec_lo, s2
	s_and_saveexec_b32 s2, s9
	s_cbranch_execz .LBB49_46
.LBB49_68:
	v_lshlrev_b32_e32 v9, 2, v37
	v_add_co_u32 v31, s3, s22, v9
	v_add_co_ci_u32_e64 v32, null, s24, 0, s3
	flat_load_dword v9, v[31:32]
	s_or_b32 exec_lo, exec_lo, s2
	s_and_saveexec_b32 s2, s10
	s_cbranch_execz .LBB49_47
.LBB49_69:
	v_lshlrev_b32_e32 v10, 2, v38
	v_add_co_u32 v31, s3, s22, v10
	v_add_co_ci_u32_e64 v32, null, s24, 0, s3
	flat_load_dword v10, v[31:32]
	s_or_b32 exec_lo, exec_lo, s2
	s_and_saveexec_b32 s2, s11
	s_cbranch_execz .LBB49_48
.LBB49_70:
	v_lshlrev_b32_e32 v11, 2, v39
	v_add_co_u32 v31, s3, s22, v11
	v_add_co_ci_u32_e64 v32, null, s24, 0, s3
	flat_load_dword v11, v[31:32]
	s_or_b32 exec_lo, exec_lo, s2
	s_and_saveexec_b32 s2, s12
	s_cbranch_execz .LBB49_49
.LBB49_71:
	v_lshlrev_b32_e32 v12, 2, v40
	v_add_co_u32 v31, s3, s22, v12
	v_add_co_ci_u32_e64 v32, null, s24, 0, s3
	flat_load_dword v12, v[31:32]
	s_or_b32 exec_lo, exec_lo, s2
	s_and_saveexec_b32 s2, s13
	s_cbranch_execz .LBB49_50
.LBB49_72:
	v_lshlrev_b32_e32 v13, 2, v41
	v_add_co_u32 v31, s3, s22, v13
	v_add_co_ci_u32_e64 v32, null, s24, 0, s3
	flat_load_dword v13, v[31:32]
	s_or_b32 exec_lo, exec_lo, s2
	s_and_saveexec_b32 s2, s14
	s_cbranch_execz .LBB49_51
.LBB49_73:
	v_lshlrev_b32_e32 v14, 2, v42
	v_add_co_u32 v31, s3, s22, v14
	v_add_co_ci_u32_e64 v32, null, s24, 0, s3
	flat_load_dword v14, v[31:32]
	s_or_b32 exec_lo, exec_lo, s2
	v_mul_u32_u24_e32 v16, 56, v0
	s_and_saveexec_b32 s2, s15
	s_cbranch_execnz .LBB49_52
	s_branch .LBB49_53
.LBB49_74:
	s_mov_b32 s42, 0
                                        ; implicit-def: $sgpr15
                                        ; implicit-def: $vgpr72
                                        ; implicit-def: $vgpr64
                                        ; implicit-def: $vgpr65
                                        ; implicit-def: $vgpr66
                                        ; implicit-def: $vgpr67
                                        ; implicit-def: $vgpr68
                                        ; implicit-def: $vgpr69
                                        ; implicit-def: $vgpr70
                                        ; implicit-def: $vgpr71
                                        ; implicit-def: $vgpr73
                                        ; implicit-def: $vgpr74
                                        ; implicit-def: $vgpr75
                                        ; implicit-def: $vgpr76
                                        ; implicit-def: $vgpr77
	s_cbranch_execz .LBB49_78
.LBB49_75:
	v_lshlrev_b32_e32 v1, 2, v0
	v_cmp_ne_u32_e64 s2, v17, v18
	v_cmp_ne_u32_e64 s3, v20, v17
	;; [unrolled: 1-line block ×13, first 2 shown]
	v_cmp_ne_u32_e32 vcc_lo, v18, v63
	ds_write_b32 v1, v63
	s_waitcnt lgkmcnt(0)
	s_barrier
	buffer_gl0_inv
                                        ; implicit-def: $sgpr15
	s_and_saveexec_b32 s20, s1
	s_xor_b32 s20, exec_lo, s20
	s_cbranch_execz .LBB49_77
; %bb.76:
	v_add_nc_u32_e32 v1, -4, v1
	s_or_b32 s42, s42, exec_lo
	ds_read_b32 v1, v1
	s_waitcnt lgkmcnt(0)
	v_cmp_ne_u32_e64 s15, v1, v29
.LBB49_77:
	s_or_b32 exec_lo, exec_lo, s20
	v_cndmask_b32_e64 v72, 0, 1, vcc_lo
	v_cndmask_b32_e64 v64, 0, 1, s2
	v_cndmask_b32_e64 v65, 0, 1, s3
	;; [unrolled: 1-line block ×13, first 2 shown]
.LBB49_78:
	s_branch .LBB49_87
.LBB49_79:
	s_mul_hi_u32 s2, s18, 0xfffff100
	s_mul_i32 s3, s19, 0xfffff100
	s_sub_i32 s2, s2, s18
	s_mul_i32 s4, s18, 0xfffff100
	s_add_i32 s2, s2, s3
	s_add_u32 s24, s4, s44
	s_addc_u32 s25, s2, s45
	v_cmp_ne_u32_e64 s10, v18, v63
	v_cmp_ne_u32_e64 s11, v17, v18
	v_cmp_ne_u32_e64 s12, v20, v17
	v_cmp_ne_u32_e64 s13, v19, v20
	v_cmp_ne_u32_e64 s14, v22, v19
	v_cmp_ne_u32_e64 s15, v21, v22
	v_cmp_ne_u32_e64 s9, v24, v21
	v_cmp_ne_u32_e64 s8, v23, v24
	v_cmp_ne_u32_e64 s7, v26, v23
	v_cmp_ne_u32_e64 s3, v25, v26
	v_cmp_ne_u32_e64 s4, v28, v25
	v_cmp_ne_u32_e64 s5, v27, v28
	v_cmp_ne_u32_e64 s6, v30, v27
	v_cmp_ne_u32_e64 s2, v29, v30
	v_mad_u32_u24 v1, v0, 15, 14
	v_mad_u32_u24 v55, v0, 15, 13
	;; [unrolled: 1-line block ×14, first 2 shown]
	s_and_b32 vcc_lo, exec_lo, s16
	s_cbranch_vccz .LBB49_83
; %bb.80:
	s_abs_i32 s22, s21
	s_add_i32 s16, s17, -1
	v_cvt_f32_u32_e32 v2, s22
	s_xor_b32 s18, s16, s21
	s_sub_i32 s17, 1, s17
	s_ashr_i32 s45, s18, 31
	s_max_i32 s21, s16, s17
	v_rcp_iflag_f32_e32 v4, v2
	s_sub_i32 s16, 0, s22
	v_mov_b32_e32 v2, 0
	v_lshlrev_b32_e32 v58, 2, v0
	v_mul_u32_u24_e32 v57, 15, v0
	s_mov_b32 s42, -1
	s_mov_b32 s43, 0
	v_cmp_gt_u64_e32 vcc_lo, s[24:25], v[1:2]
	v_mov_b32_e32 v56, v2
	v_mov_b32_e32 v54, v2
	v_mul_f32_e32 v4, 0x4f7ffffe, v4
	v_mov_b32_e32 v52, v2
	v_mov_b32_e32 v50, v2
	;; [unrolled: 1-line block ×4, first 2 shown]
	v_cvt_u32_f32_e32 v4, v4
	v_mov_b32_e32 v42, v2
	v_mov_b32_e32 v48, v2
	;; [unrolled: 1-line block ×4, first 2 shown]
	v_readfirstlane_b32 s18, v4
	v_mov_b32_e32 v8, v2
	v_mov_b32_e32 v6, v2
	;; [unrolled: 1-line block ×3, first 2 shown]
	v_cmp_gt_u64_e64 s20, s[24:25], v[47:48]
	s_mul_i32 s17, s16, s18
	v_cmp_gt_u64_e64 s16, s[24:25], v[55:56]
	s_mul_hi_u32 s19, s18, s17
	v_cmp_gt_u64_e64 s17, s[24:25], v[53:54]
	s_add_i32 s19, s18, s19
	v_cmp_gt_u64_e64 s18, s[24:25], v[51:52]
	s_mul_hi_u32 s44, s21, s19
	v_cmp_gt_u64_e64 s19, s[24:25], v[49:50]
	s_mul_i32 s48, s44, s22
	s_add_i32 s49, s44, 1
	s_sub_i32 s48, s21, s48
	v_cmp_gt_u64_e64 s21, s[24:25], v[45:46]
	s_sub_i32 s50, s48, s22
	s_cmp_ge_u32 s48, s22
	ds_write_b32 v58, v63
	s_cselect_b32 s44, s49, s44
	s_cselect_b32 s48, s50, s48
	s_add_i32 s49, s44, 1
	s_cmp_ge_u32 s48, s22
	v_cmp_gt_u64_e64 s22, s[24:25], v[43:44]
	s_cselect_b32 s48, s49, s44
	s_and_b32 s44, vcc_lo, s10
	v_cmp_gt_u64_e32 vcc_lo, s[24:25], v[41:42]
	s_xor_b32 s10, s48, s45
	s_and_b32 s16, s16, s11
	s_and_b32 s12, s17, s12
	;; [unrolled: 1-line block ×5, first 2 shown]
	s_sub_i32 s19, s10, s45
	s_and_b32 s18, s22, s8
	v_cmp_gt_u64_e64 s8, s[24:25], v[39:40]
	v_cmp_gt_u64_e64 s9, s[24:25], v[37:38]
	;; [unrolled: 1-line block ×4, first 2 shown]
	s_and_b32 s7, vcc_lo, s7
	v_cmp_gt_u64_e32 vcc_lo, s[24:25], v[3:4]
	v_mov_b32_e32 v4, s19
	s_and_b32 s15, s20, s15
	s_and_b32 s8, s8, s3
	;; [unrolled: 1-line block ×5, first 2 shown]
	s_and_b32 s6, vcc_lo, s2
	s_waitcnt lgkmcnt(0)
	s_barrier
	buffer_gl0_inv
	s_and_saveexec_b32 s2, s1
; %bb.81:
	v_add_nc_u32_e32 v4, -4, v58
	ds_read_b32 v4, v4
; %bb.82:
	s_or_b32 exec_lo, exec_lo, s2
	v_mov_b32_e32 v58, v2
	s_waitcnt lgkmcnt(0)
	v_cmp_ne_u32_e64 s2, v4, v29
	v_cndmask_b32_e64 v72, 0, 1, s44
	v_cndmask_b32_e64 v64, 0, 1, s16
	;; [unrolled: 1-line block ×3, first 2 shown]
	v_cmp_gt_u64_e32 vcc_lo, s[24:25], v[57:58]
	v_cndmask_b32_e64 v66, 0, 1, s13
	v_cndmask_b32_e64 v67, 0, 1, s14
	v_cndmask_b32_e64 v68, 0, 1, s15
	v_cndmask_b32_e64 v69, 0, 1, s17
	v_cndmask_b32_e64 v70, 0, 1, s18
	v_cndmask_b32_e64 v71, 0, 1, s7
	v_cndmask_b32_e64 v73, 0, 1, s8
	v_cndmask_b32_e64 v74, 0, 1, s4
	v_cndmask_b32_e64 v75, 0, 1, s5
	v_cndmask_b32_e64 v76, 0, 1, s3
	v_cndmask_b32_e64 v77, 0, 1, s6
	s_and_b32 s15, vcc_lo, s2
	s_and_b32 vcc_lo, exec_lo, s43
	s_cbranch_vccnz .LBB49_84
	s_branch .LBB49_87
.LBB49_83:
                                        ; implicit-def: $sgpr15
                                        ; implicit-def: $vgpr72
                                        ; implicit-def: $vgpr64
                                        ; implicit-def: $vgpr65
                                        ; implicit-def: $vgpr66
                                        ; implicit-def: $vgpr67
                                        ; implicit-def: $vgpr68
                                        ; implicit-def: $vgpr69
                                        ; implicit-def: $vgpr70
                                        ; implicit-def: $vgpr71
                                        ; implicit-def: $vgpr73
                                        ; implicit-def: $vgpr74
                                        ; implicit-def: $vgpr75
                                        ; implicit-def: $vgpr76
                                        ; implicit-def: $vgpr77
	s_cbranch_execz .LBB49_87
.LBB49_84:
	v_mov_b32_e32 v2, 0
	v_cmp_ne_u32_e32 vcc_lo, v18, v63
	v_cmp_ne_u32_e64 s2, v17, v18
	v_cmp_ne_u32_e64 s3, v20, v17
	v_cmp_ne_u32_e64 s8, v30, v27
	v_mov_b32_e32 v56, v2
	v_mov_b32_e32 v54, v2
	v_cmp_gt_u64_e64 s4, s[24:25], v[1:2]
	v_mov_b32_e32 v52, v2
	v_mov_b32_e32 v50, v2
	v_cmp_gt_u64_e64 s5, s[24:25], v[55:56]
	v_cmp_gt_u64_e64 s6, s[24:25], v[53:54]
	v_mov_b32_e32 v48, v2
	s_and_b32 s11, s4, vcc_lo
	v_cmp_gt_u64_e32 vcc_lo, s[24:25], v[51:52]
	v_cmp_ne_u32_e64 s4, v22, v19
	s_and_b32 s12, s5, s2
	s_and_b32 s13, s6, s3
	v_cmp_gt_u64_e64 s3, s[24:25], v[49:50]
	v_cmp_gt_u64_e64 s5, s[24:25], v[47:48]
	v_cmp_ne_u32_e64 s2, v19, v20
	v_cmp_ne_u32_e64 s6, v21, v22
	v_mov_b32_e32 v46, v2
	v_mov_b32_e32 v44, v2
	;; [unrolled: 1-line block ×3, first 2 shown]
	s_and_b32 s14, vcc_lo, s2
	s_and_b32 s16, s3, s4
	s_and_b32 s17, s5, s6
	v_cmp_gt_u64_e32 vcc_lo, s[24:25], v[45:46]
	v_cmp_gt_u64_e64 s3, s[24:25], v[43:44]
	v_cmp_gt_u64_e64 s5, s[24:25], v[41:42]
	v_cmp_ne_u32_e64 s2, v24, v21
	v_cmp_ne_u32_e64 s4, v23, v24
	;; [unrolled: 1-line block ×3, first 2 shown]
	v_mov_b32_e32 v40, v2
	v_mov_b32_e32 v38, v2
	;; [unrolled: 1-line block ×5, first 2 shown]
	s_and_b32 s18, vcc_lo, s2
	s_and_b32 s19, s3, s4
	s_and_b32 s20, s5, s6
	v_cmp_gt_u64_e32 vcc_lo, s[24:25], v[39:40]
	v_cmp_gt_u64_e64 s3, s[24:25], v[37:38]
	v_cmp_gt_u64_e64 s5, s[24:25], v[7:8]
	;; [unrolled: 1-line block ×4, first 2 shown]
	v_cmp_ne_u32_e64 s2, v25, v26
	v_cmp_ne_u32_e64 s4, v28, v25
	v_cmp_ne_u32_e64 s6, v27, v28
	v_cmp_ne_u32_e64 s10, v29, v30
	v_lshlrev_b32_e32 v57, 2, v0
	s_and_b32 s2, vcc_lo, s2
	s_and_b32 s3, s3, s4
	s_and_b32 s4, s5, s6
	;; [unrolled: 1-line block ×4, first 2 shown]
	ds_write_b32 v57, v63
	s_waitcnt lgkmcnt(0)
	s_barrier
	buffer_gl0_inv
                                        ; implicit-def: $sgpr15
	s_and_saveexec_b32 s7, s1
	s_cbranch_execz .LBB49_86
; %bb.85:
	v_add_nc_u32_e32 v1, -4, v57
	s_or_b32 s42, s42, exec_lo
	ds_read_b32 v3, v1
	v_mul_u32_u24_e32 v1, 15, v0
	v_cmp_gt_u64_e32 vcc_lo, s[24:25], v[1:2]
	s_waitcnt lgkmcnt(0)
	v_cmp_ne_u32_e64 s1, v3, v29
	s_and_b32 s15, vcc_lo, s1
.LBB49_86:
	s_or_b32 exec_lo, exec_lo, s7
	v_cndmask_b32_e64 v72, 0, 1, s11
	v_cndmask_b32_e64 v64, 0, 1, s12
	;; [unrolled: 1-line block ×14, first 2 shown]
.LBB49_87:
	v_mov_b32_e32 v78, 1
	s_and_saveexec_b32 s1, s42
; %bb.88:
	v_cndmask_b32_e64 v78, 0, 1, s15
; %bb.89:
	s_or_b32 exec_lo, exec_lo, s1
	v_add3_u32 v1, v77, v78, v76
	v_cmp_eq_u32_e64 s13, 0, v77
	v_cmp_eq_u32_e64 s12, 0, v76
	;; [unrolled: 1-line block ×4, first 2 shown]
	v_add3_u32 v84, v1, v75, v74
	v_cmp_eq_u32_e64 s9, 0, v73
	v_cmp_eq_u32_e64 s8, 0, v71
	;; [unrolled: 1-line block ×9, first 2 shown]
	v_mbcnt_lo_u32_b32 v81, -1, 0
	v_lshrrev_b32_e32 v82, 5, v0
	v_or_b32_e32 v83, 31, v0
	s_cmp_eq_u64 s[38:39], 0
	v_cmp_eq_u32_e32 vcc_lo, 0, v72
	s_cselect_b32 s17, -1, 0
	s_cmp_lg_u32 s40, 0
	s_cbranch_scc0 .LBB49_111
; %bb.90:
	v_cndmask_b32_e64 v1, 0, v35, s13
	v_add3_u32 v2, v84, v73, v71
	v_and_b32_e32 v4, 15, v81
	v_add_nc_u32_e32 v1, v1, v36
	v_add3_u32 v2, v2, v70, v69
	v_cndmask_b32_e64 v1, 0, v1, s12
	v_add3_u32 v2, v2, v68, v67
	v_add_nc_u32_e32 v1, v1, v33
	v_add3_u32 v2, v2, v66, v65
	v_cndmask_b32_e64 v1, 0, v1, s11
	v_add3_u32 v2, v2, v64, v72
	v_add_nc_u32_e32 v1, v1, v34
	v_mov_b32_dpp v5, v2 row_shr:1 row_mask:0xf bank_mask:0xf
	v_cndmask_b32_e64 v1, 0, v1, s10
	v_add_nc_u32_e32 v1, v1, v31
	v_cndmask_b32_e64 v1, 0, v1, s9
	v_add_nc_u32_e32 v1, v1, v32
	;; [unrolled: 2-line block ×10, first 2 shown]
	v_cndmask_b32_e32 v1, 0, v1, vcc_lo
	v_cmp_eq_u32_e32 vcc_lo, 0, v2
	v_add_nc_u32_e32 v1, v1, v79
	v_mov_b32_dpp v3, v1 row_shr:1 row_mask:0xf bank_mask:0xf
	v_cndmask_b32_e32 v3, 0, v3, vcc_lo
	v_cmp_eq_u32_e32 vcc_lo, 0, v4
	v_cndmask_b32_e64 v5, v5, 0, vcc_lo
	v_cndmask_b32_e64 v3, v3, 0, vcc_lo
	v_cmp_lt_u32_e32 vcc_lo, 1, v4
	v_add_nc_u32_e32 v2, v5, v2
	v_add_nc_u32_e32 v1, v3, v1
	v_mov_b32_dpp v3, v2 row_shr:2 row_mask:0xf bank_mask:0xf
	v_cmp_eq_u32_e64 s14, 0, v2
	v_mov_b32_dpp v5, v1 row_shr:2 row_mask:0xf bank_mask:0xf
	v_cndmask_b32_e32 v3, 0, v3, vcc_lo
	s_and_b32 vcc_lo, vcc_lo, s14
	v_cndmask_b32_e32 v5, 0, v5, vcc_lo
	v_cmp_lt_u32_e32 vcc_lo, 3, v4
	v_add_nc_u32_e32 v2, v2, v3
	v_add_nc_u32_e32 v1, v5, v1
	v_mov_b32_dpp v3, v2 row_shr:4 row_mask:0xf bank_mask:0xf
	v_cmp_eq_u32_e64 s14, 0, v2
	v_mov_b32_dpp v5, v1 row_shr:4 row_mask:0xf bank_mask:0xf
	v_cndmask_b32_e32 v3, 0, v3, vcc_lo
	s_and_b32 vcc_lo, vcc_lo, s14
	v_cndmask_b32_e32 v5, 0, v5, vcc_lo
	v_cmp_lt_u32_e32 vcc_lo, 7, v4
	v_add_nc_u32_e32 v2, v3, v2
	v_add_nc_u32_e32 v1, v1, v5
	v_bfe_i32 v5, v81, 4, 1
	v_mov_b32_dpp v3, v2 row_shr:8 row_mask:0xf bank_mask:0xf
	v_cmp_eq_u32_e64 s14, 0, v2
	v_mov_b32_dpp v4, v1 row_shr:8 row_mask:0xf bank_mask:0xf
	v_cndmask_b32_e32 v3, 0, v3, vcc_lo
	s_and_b32 vcc_lo, vcc_lo, s14
	s_mov_b32 s14, exec_lo
	v_cndmask_b32_e32 v4, 0, v4, vcc_lo
	v_add_nc_u32_e32 v4, v4, v1
	v_add_nc_u32_e32 v1, v3, v2
	ds_swizzle_b32 v2, v4 offset:swizzle(BROADCAST,32,15)
	ds_swizzle_b32 v3, v1 offset:swizzle(BROADCAST,32,15)
	v_cmp_eq_u32_e32 vcc_lo, 0, v1
	s_waitcnt lgkmcnt(1)
	v_cndmask_b32_e32 v2, 0, v2, vcc_lo
	s_waitcnt lgkmcnt(0)
	v_and_b32_e32 v3, v5, v3
	v_and_b32_e32 v2, v5, v2
	v_add_nc_u32_e32 v1, v3, v1
	v_lshlrev_b32_e32 v3, 3, v82
	v_add_nc_u32_e32 v2, v2, v4
	v_cmpx_eq_u32_e64 v0, v83
; %bb.91:
	ds_write_b64 v3, v[1:2] offset:2064
; %bb.92:
	s_or_b32 exec_lo, exec_lo, s14
	s_mov_b32 s15, exec_lo
	s_waitcnt lgkmcnt(0)
	s_barrier
	buffer_gl0_inv
	v_cmpx_gt_u32_e32 8, v0
	s_cbranch_execz .LBB49_94
; %bb.93:
	v_lshlrev_b32_e32 v6, 3, v0
	v_and_b32_e32 v8, 7, v81
	ds_read_b64 v[4:5], v6 offset:2064
	s_waitcnt lgkmcnt(0)
	v_mov_b32_dpp v7, v5 row_shr:1 row_mask:0xf bank_mask:0xf
	v_cmp_eq_u32_e32 vcc_lo, 0, v4
	v_mov_b32_dpp v37, v4 row_shr:1 row_mask:0xf bank_mask:0xf
	v_cndmask_b32_e32 v7, 0, v7, vcc_lo
	v_cmp_eq_u32_e32 vcc_lo, 0, v8
	v_cndmask_b32_e64 v37, v37, 0, vcc_lo
	v_cndmask_b32_e64 v7, v7, 0, vcc_lo
	v_cmp_lt_u32_e32 vcc_lo, 1, v8
	v_add_nc_u32_e32 v4, v37, v4
	v_add_nc_u32_e32 v5, v7, v5
	v_mov_b32_dpp v7, v4 row_shr:2 row_mask:0xf bank_mask:0xf
	v_cmp_eq_u32_e64 s14, 0, v4
	v_mov_b32_dpp v37, v5 row_shr:2 row_mask:0xf bank_mask:0xf
	v_cndmask_b32_e32 v7, 0, v7, vcc_lo
	s_and_b32 vcc_lo, vcc_lo, s14
	v_cndmask_b32_e32 v37, 0, v37, vcc_lo
	v_cmp_lt_u32_e32 vcc_lo, 3, v8
	v_add_nc_u32_e32 v4, v7, v4
	v_add_nc_u32_e32 v5, v37, v5
	v_mov_b32_dpp v7, v4 row_shr:4 row_mask:0xf bank_mask:0xf
	v_cmp_eq_u32_e64 s14, 0, v4
	v_mov_b32_dpp v8, v5 row_shr:4 row_mask:0xf bank_mask:0xf
	v_cndmask_b32_e32 v7, 0, v7, vcc_lo
	s_and_b32 vcc_lo, vcc_lo, s14
	v_cndmask_b32_e32 v8, 0, v8, vcc_lo
	v_add_nc_u32_e32 v4, v7, v4
	v_add_nc_u32_e32 v5, v8, v5
	ds_write_b64 v6, v[4:5] offset:2064
.LBB49_94:
	s_or_b32 exec_lo, exec_lo, s15
	v_mov_b32_e32 v37, 0
	v_mov_b32_e32 v38, 0
	s_mov_b32 s15, exec_lo
	v_cmp_gt_u32_e32 vcc_lo, 32, v0
	s_waitcnt lgkmcnt(0)
	s_barrier
	buffer_gl0_inv
	v_cmpx_lt_u32_e32 31, v0
	s_cbranch_execz .LBB49_96
; %bb.95:
	ds_read_b64 v[37:38], v3 offset:2056
	v_cmp_eq_u32_e64 s14, 0, v1
	s_waitcnt lgkmcnt(0)
	v_cndmask_b32_e64 v3, 0, v38, s14
	v_add_nc_u32_e32 v1, v37, v1
	v_add_nc_u32_e32 v2, v3, v2
.LBB49_96:
	s_or_b32 exec_lo, exec_lo, s15
	v_sub_co_u32 v3, s14, v81, 1
	v_cmp_gt_i32_e64 s15, 0, v3
	v_cndmask_b32_e64 v3, v3, v81, s15
	v_lshlrev_b32_e32 v3, 2, v3
	ds_bpermute_b32 v43, v3, v1
	ds_bpermute_b32 v44, v3, v2
	s_and_saveexec_b32 s18, vcc_lo
	s_cbranch_execz .LBB49_116
; %bb.97:
	v_mov_b32_e32 v4, 0
	ds_read_b64 v[1:2], v4 offset:2120
	s_and_saveexec_b32 s15, s14
	s_cbranch_execz .LBB49_99
; %bb.98:
	s_add_i32 s20, s40, 32
	s_mov_b32 s21, 0
	v_mov_b32_e32 v3, 1
	s_lshl_b64 s[20:21], s[20:21], 4
	s_add_u32 s20, s36, s20
	s_addc_u32 s21, s37, s21
	v_mov_b32_e32 v5, s20
	v_mov_b32_e32 v6, s21
	s_waitcnt lgkmcnt(0)
	;;#ASMSTART
	global_store_dwordx4 v[5:6], v[1:4] off	
s_waitcnt vmcnt(0)
	;;#ASMEND
.LBB49_99:
	s_or_b32 exec_lo, exec_lo, s15
	v_xad_u32 v39, v81, -1, s40
	s_mov_b32 s16, 0
	v_add_nc_u32_e32 v3, 32, v39
	v_lshlrev_b64 v[5:6], 4, v[3:4]
	v_add_co_u32 v40, vcc_lo, s36, v5
	v_add_co_ci_u32_e64 v41, null, s37, v6, vcc_lo
	;;#ASMSTART
	global_load_dwordx4 v[5:8], v[40:41] off glc dlc	
s_waitcnt vmcnt(0)
	;;#ASMEND
	v_cmp_eq_u16_sdwa s19, v7, v4 src0_sel:BYTE_0 src1_sel:DWORD
	s_and_saveexec_b32 s15, s19
	s_cbranch_execz .LBB49_103
; %bb.100:
	v_mov_b32_e32 v3, 0
.LBB49_101:                             ; =>This Inner Loop Header: Depth=1
	;;#ASMSTART
	global_load_dwordx4 v[5:8], v[40:41] off glc dlc	
s_waitcnt vmcnt(0)
	;;#ASMEND
	v_cmp_ne_u16_sdwa s19, v7, v3 src0_sel:BYTE_0 src1_sel:DWORD
	s_or_b32 s16, s19, s16
	s_andn2_b32 exec_lo, exec_lo, s16
	s_cbranch_execnz .LBB49_101
; %bb.102:
	s_or_b32 exec_lo, exec_lo, s16
.LBB49_103:
	s_or_b32 exec_lo, exec_lo, s15
	v_cmp_ne_u32_e32 vcc_lo, 31, v81
	v_mov_b32_e32 v46, 2
	v_lshlrev_b32_e64 v47, v81, -1
	v_cmp_gt_u32_e64 s16, 30, v81
	v_add_nc_u32_e32 v49, 2, v81
	v_add_co_ci_u32_e64 v3, null, 0, v81, vcc_lo
	v_cmp_eq_u16_sdwa s15, v7, v46 src0_sel:BYTE_0 src1_sel:DWORD
	v_cmp_eq_u32_e32 vcc_lo, 0, v5
	v_cndmask_b32_e64 v40, 0, 2, s16
	v_lshlrev_b32_e32 v45, 2, v3
	v_add_nc_u32_e32 v51, 4, v81
	v_and_or_b32 v8, s15, v47, 0x80000000
	v_add_nc_u32_e32 v53, 8, v81
	v_add_lshl_u32 v48, v40, v81, 2
	ds_bpermute_b32 v4, v45, v6
	ds_bpermute_b32 v3, v45, v5
	v_ffbl_b32_e32 v8, v8
	v_lshl_or_b32 v54, v81, 2, 64
	v_add_nc_u32_e32 v55, 16, v81
	v_cmp_lt_u32_e64 s15, v81, v8
	s_and_b32 vcc_lo, s15, vcc_lo
	s_waitcnt lgkmcnt(1)
	v_cndmask_b32_e32 v4, 0, v4, vcc_lo
	s_waitcnt lgkmcnt(0)
	v_cndmask_b32_e64 v3, 0, v3, s15
	v_add_nc_u32_e32 v4, v4, v6
	v_add_nc_u32_e32 v3, v3, v5
	ds_bpermute_b32 v6, v48, v4
	v_cmp_eq_u32_e32 vcc_lo, 0, v3
	s_waitcnt lgkmcnt(0)
	v_cndmask_b32_e32 v5, 0, v6, vcc_lo
	v_cmp_gt_u32_e32 vcc_lo, 28, v81
	ds_bpermute_b32 v6, v48, v3
	v_cndmask_b32_e64 v40, 0, 4, vcc_lo
	v_cmp_gt_u32_e32 vcc_lo, v49, v8
	v_add_lshl_u32 v50, v40, v81, 2
	v_cndmask_b32_e64 v5, v5, 0, vcc_lo
	v_add_nc_u32_e32 v4, v5, v4
	ds_bpermute_b32 v5, v50, v4
	s_waitcnt lgkmcnt(1)
	v_cndmask_b32_e64 v6, v6, 0, vcc_lo
	v_add_nc_u32_e32 v3, v3, v6
	v_cmp_eq_u32_e32 vcc_lo, 0, v3
	ds_bpermute_b32 v6, v50, v3
	s_waitcnt lgkmcnt(1)
	v_cndmask_b32_e32 v5, 0, v5, vcc_lo
	v_cmp_gt_u32_e32 vcc_lo, 24, v81
	v_cndmask_b32_e64 v40, 0, 8, vcc_lo
	v_cmp_gt_u32_e32 vcc_lo, v51, v8
	v_add_lshl_u32 v52, v40, v81, 2
	v_cndmask_b32_e64 v5, v5, 0, vcc_lo
	s_waitcnt lgkmcnt(0)
	v_cndmask_b32_e64 v6, v6, 0, vcc_lo
	v_mov_b32_e32 v40, 0
	v_add_nc_u32_e32 v4, v4, v5
	v_add_nc_u32_e32 v3, v3, v6
	ds_bpermute_b32 v5, v52, v4
	ds_bpermute_b32 v6, v52, v3
	v_cmp_eq_u32_e32 vcc_lo, 0, v3
	s_waitcnt lgkmcnt(1)
	v_cndmask_b32_e32 v5, 0, v5, vcc_lo
	v_cmp_gt_u32_e32 vcc_lo, v53, v8
	v_cndmask_b32_e64 v5, v5, 0, vcc_lo
	v_add_nc_u32_e32 v4, v4, v5
	s_waitcnt lgkmcnt(0)
	v_cndmask_b32_e64 v5, v6, 0, vcc_lo
	ds_bpermute_b32 v6, v54, v4
	v_add_nc_u32_e32 v3, v3, v5
	ds_bpermute_b32 v5, v54, v3
	v_cmp_eq_u32_e32 vcc_lo, 0, v3
	s_waitcnt lgkmcnt(1)
	v_cndmask_b32_e32 v6, 0, v6, vcc_lo
	v_cmp_gt_u32_e32 vcc_lo, v55, v8
	v_cndmask_b32_e64 v6, v6, 0, vcc_lo
	s_waitcnt lgkmcnt(0)
	v_cndmask_b32_e64 v5, v5, 0, vcc_lo
	v_add_nc_u32_e32 v6, v6, v4
	v_add_nc_u32_e32 v5, v5, v3
	s_branch .LBB49_107
.LBB49_104:                             ;   in Loop: Header=BB49_107 Depth=1
	s_or_b32 exec_lo, exec_lo, s16
.LBB49_105:                             ;   in Loop: Header=BB49_107 Depth=1
	s_or_b32 exec_lo, exec_lo, s15
	v_cmp_eq_u16_sdwa s15, v7, v46 src0_sel:BYTE_0 src1_sel:DWORD
	ds_bpermute_b32 v41, v45, v6
	v_cmp_eq_u32_e32 vcc_lo, 0, v5
	ds_bpermute_b32 v8, v45, v5
	v_subrev_nc_u32_e32 v39, 32, v39
	v_and_or_b32 v42, s15, v47, 0x80000000
	v_ffbl_b32_e32 v42, v42
	v_cmp_lt_u32_e64 s15, v81, v42
	s_and_b32 vcc_lo, s15, vcc_lo
	s_waitcnt lgkmcnt(1)
	v_cndmask_b32_e32 v41, 0, v41, vcc_lo
	s_waitcnt lgkmcnt(0)
	v_cndmask_b32_e64 v8, 0, v8, s15
	s_mov_b32 s15, 0
	v_add_nc_u32_e32 v6, v41, v6
	v_add_nc_u32_e32 v5, v8, v5
	ds_bpermute_b32 v41, v48, v6
	v_cmp_eq_u32_e32 vcc_lo, 0, v5
	s_waitcnt lgkmcnt(0)
	v_cndmask_b32_e32 v8, 0, v41, vcc_lo
	ds_bpermute_b32 v41, v48, v5
	v_cmp_gt_u32_e32 vcc_lo, v49, v42
	v_cndmask_b32_e64 v8, v8, 0, vcc_lo
	v_add_nc_u32_e32 v6, v8, v6
	ds_bpermute_b32 v8, v50, v6
	s_waitcnt lgkmcnt(1)
	v_cndmask_b32_e64 v41, v41, 0, vcc_lo
	v_add_nc_u32_e32 v5, v5, v41
	v_cmp_eq_u32_e32 vcc_lo, 0, v5
	ds_bpermute_b32 v41, v50, v5
	s_waitcnt lgkmcnt(1)
	v_cndmask_b32_e32 v8, 0, v8, vcc_lo
	v_cmp_gt_u32_e32 vcc_lo, v51, v42
	v_cndmask_b32_e64 v8, v8, 0, vcc_lo
	v_add_nc_u32_e32 v6, v6, v8
	s_waitcnt lgkmcnt(0)
	v_cndmask_b32_e64 v41, v41, 0, vcc_lo
	ds_bpermute_b32 v8, v52, v6
	v_add_nc_u32_e32 v5, v5, v41
	ds_bpermute_b32 v41, v52, v5
	v_cmp_eq_u32_e32 vcc_lo, 0, v5
	s_waitcnt lgkmcnt(1)
	v_cndmask_b32_e32 v8, 0, v8, vcc_lo
	v_cmp_gt_u32_e32 vcc_lo, v53, v42
	v_cndmask_b32_e64 v8, v8, 0, vcc_lo
	s_waitcnt lgkmcnt(0)
	v_cndmask_b32_e64 v41, v41, 0, vcc_lo
	v_add_nc_u32_e32 v6, v6, v8
	v_add_nc_u32_e32 v5, v5, v41
	ds_bpermute_b32 v8, v54, v6
	ds_bpermute_b32 v41, v54, v5
	v_cmp_eq_u32_e32 vcc_lo, 0, v5
	s_waitcnt lgkmcnt(1)
	v_cndmask_b32_e32 v8, 0, v8, vcc_lo
	v_cmp_gt_u32_e32 vcc_lo, v55, v42
	v_cndmask_b32_e64 v8, v8, 0, vcc_lo
	v_add_nc_u32_e32 v6, v8, v6
	s_waitcnt lgkmcnt(0)
	v_cndmask_b32_e64 v8, v41, 0, vcc_lo
	v_cmp_eq_u32_e32 vcc_lo, 0, v3
	v_add3_u32 v5, v5, v3, v8
	v_cndmask_b32_e32 v6, 0, v6, vcc_lo
	v_add_nc_u32_e32 v6, v6, v4
.LBB49_106:                             ;   in Loop: Header=BB49_107 Depth=1
	s_and_b32 vcc_lo, exec_lo, s15
	s_cbranch_vccnz .LBB49_112
.LBB49_107:                             ; =>This Loop Header: Depth=1
                                        ;     Child Loop BB49_110 Depth 2
	v_cmp_ne_u16_sdwa s15, v7, v46 src0_sel:BYTE_0 src1_sel:DWORD
	v_mov_b32_e32 v4, v6
	v_mov_b32_e32 v3, v5
                                        ; implicit-def: $vgpr6
                                        ; implicit-def: $vgpr5
                                        ; implicit-def: $vgpr7
	s_cmp_lg_u32 s15, exec_lo
	s_mov_b32 s15, -1
	s_cbranch_scc1 .LBB49_106
; %bb.108:                              ;   in Loop: Header=BB49_107 Depth=1
	v_lshlrev_b64 v[5:6], 4, v[39:40]
	v_add_co_u32 v41, vcc_lo, s36, v5
	v_add_co_ci_u32_e64 v42, null, s37, v6, vcc_lo
	;;#ASMSTART
	global_load_dwordx4 v[5:8], v[41:42] off glc dlc	
s_waitcnt vmcnt(0)
	;;#ASMEND
	v_cmp_eq_u16_sdwa s16, v7, v40 src0_sel:BYTE_0 src1_sel:DWORD
	s_and_saveexec_b32 s15, s16
	s_cbranch_execz .LBB49_105
; %bb.109:                              ;   in Loop: Header=BB49_107 Depth=1
	s_mov_b32 s16, 0
.LBB49_110:                             ;   Parent Loop BB49_107 Depth=1
                                        ; =>  This Inner Loop Header: Depth=2
	;;#ASMSTART
	global_load_dwordx4 v[5:8], v[41:42] off glc dlc	
s_waitcnt vmcnt(0)
	;;#ASMEND
	v_cmp_ne_u16_sdwa s19, v7, v40 src0_sel:BYTE_0 src1_sel:DWORD
	s_or_b32 s16, s19, s16
	s_andn2_b32 exec_lo, exec_lo, s16
	s_cbranch_execnz .LBB49_110
	s_branch .LBB49_104
.LBB49_111:
                                        ; implicit-def: $vgpr1
                                        ; implicit-def: $vgpr80
                                        ; implicit-def: $vgpr7_vgpr8
                                        ; implicit-def: $vgpr39_vgpr40
                                        ; implicit-def: $vgpr43_vgpr44
                                        ; implicit-def: $vgpr5_vgpr6
                                        ; implicit-def: $vgpr57_vgpr58
                                        ; implicit-def: $vgpr61_vgpr62
                                        ; implicit-def: $vgpr59_vgpr60
                                        ; implicit-def: $vgpr55_vgpr56
                                        ; implicit-def: $vgpr51_vgpr52
                                        ; implicit-def: $vgpr47_vgpr48
                                        ; implicit-def: $vgpr45_vgpr46
                                        ; implicit-def: $vgpr49_vgpr50
                                        ; implicit-def: $vgpr53_vgpr54
                                        ; implicit-def: $vgpr37_vgpr38
                                        ; implicit-def: $vgpr41_vgpr42
	s_cbranch_execnz .LBB49_117
	s_branch .LBB49_128
.LBB49_112:
	s_and_saveexec_b32 s15, s14
	s_cbranch_execz .LBB49_114
; %bb.113:
	v_cmp_eq_u32_e32 vcc_lo, 0, v1
	s_mov_b32 s21, 0
	s_add_i32 s20, s40, 32
	v_mov_b32_e32 v8, 0
	s_lshl_b64 s[20:21], s[20:21], 4
	v_cndmask_b32_e32 v6, 0, v4, vcc_lo
	s_add_u32 s20, s36, s20
	s_addc_u32 s21, s37, s21
	v_add_nc_u32_e32 v5, v3, v1
	v_mov_b32_e32 v40, s21
	v_add_nc_u32_e32 v6, v6, v2
	v_mov_b32_e32 v7, 2
	v_mov_b32_e32 v39, s20
	;;#ASMSTART
	global_store_dwordx4 v[39:40], v[5:8] off	
s_waitcnt vmcnt(0)
	;;#ASMEND
	ds_write_b128 v8, v[1:4] offset:2048
.LBB49_114:
	s_or_b32 exec_lo, exec_lo, s15
	s_and_b32 exec_lo, exec_lo, s0
; %bb.115:
	v_mov_b32_e32 v1, 0
	ds_write_b64 v1, v[3:4] offset:2120
.LBB49_116:
	s_or_b32 exec_lo, exec_lo, s18
	v_mov_b32_e32 v3, 0
	s_waitcnt lgkmcnt(0)
	s_barrier
	buffer_gl0_inv
	v_cndmask_b32_e64 v4, v43, v37, s14
	ds_read_b64 v[1:2], v3 offset:2120
	v_cndmask_b32_e64 v5, v44, v38, s14
	s_waitcnt lgkmcnt(0)
	s_barrier
	v_cmp_eq_u32_e32 vcc_lo, 0, v4
	buffer_gl0_inv
	v_cndmask_b32_e32 v6, 0, v2, vcc_lo
	v_cmp_eq_u32_e32 vcc_lo, 0, v78
	v_add_nc_u32_e32 v5, v6, v5
	v_cndmask_b32_e64 v58, v5, v2, s0
	v_cndmask_b32_e32 v2, 0, v58, vcc_lo
	v_add_nc_u32_e32 v62, v2, v35
	v_cndmask_b32_e64 v2, 0, v62, s13
	v_add_nc_u32_e32 v60, v2, v36
	v_cndmask_b32_e64 v2, 0, v60, s12
	;; [unrolled: 2-line block ×6, first 2 shown]
	v_cndmask_b32_e64 v4, 0, v46, s8
	v_add_nc_u32_e32 v57, v1, v2
	v_add_nc_u32_e32 v50, v4, v15
	v_add_nc_u32_e32 v61, v57, v78
	v_cndmask_b32_e64 v1, 0, v50, s7
	v_add_nc_u32_e32 v59, v61, v77
	v_add_nc_u32_e32 v54, v1, v16
	v_add_nc_u32_e32 v55, v59, v76
	;; [unrolled: 4-line block ×4, first 2 shown]
	v_cndmask_b32_e64 v1, 0, v42, s4
	v_add_nc_u32_e32 v53, v49, v70
	v_add_nc_u32_e32 v6, v1, v11
	ds_read_b128 v[1:4], v3 offset:2048
	v_add_nc_u32_e32 v37, v53, v69
	v_cndmask_b32_e64 v5, 0, v6, s3
	v_add_nc_u32_e32 v41, v37, v68
	v_add_nc_u32_e32 v44, v5, v12
	;; [unrolled: 1-line block ×3, first 2 shown]
	v_cndmask_b32_e64 v7, 0, v44, s2
	v_add_nc_u32_e32 v43, v5, v66
	v_add_nc_u32_e32 v40, v7, v9
	s_waitcnt lgkmcnt(0)
	v_cmp_eq_u32_e32 vcc_lo, 0, v1
	v_add_nc_u32_e32 v39, v43, v65
	v_cndmask_b32_e64 v8, 0, v40, s1
	v_cndmask_b32_e32 v4, 0, v4, vcc_lo
	v_add_nc_u32_e32 v7, v39, v64
	v_add_nc_u32_e32 v8, v8, v10
	;; [unrolled: 1-line block ×3, first 2 shown]
	s_branch .LBB49_128
.LBB49_117:
	s_cmp_eq_u64 s[34:35], 0
	v_mov_b32_e32 v7, v35
	s_cselect_b32 s1, -1, 0
	s_or_b32 s1, s17, s1
	s_and_b32 vcc_lo, exec_lo, s1
	s_cbranch_vccnz .LBB49_119
; %bb.118:
	v_mov_b32_e32 v1, 0
	global_load_dword v7, v1, s[34:35]
.LBB49_119:
	v_cmp_eq_u32_e64 s7, 0, v77
	v_cmp_eq_u32_e64 s8, 0, v76
	;; [unrolled: 1-line block ×5, first 2 shown]
	v_cndmask_b32_e64 v1, 0, v35, s7
	v_cmp_eq_u32_e64 s12, 0, v71
	v_cmp_eq_u32_e64 s6, 0, v70
	;; [unrolled: 1-line block ×4, first 2 shown]
	v_add_nc_u32_e32 v1, v1, v36
	v_cmp_eq_u32_e64 s3, 0, v67
	v_cmp_eq_u32_e64 s2, 0, v66
	v_cmp_eq_u32_e32 vcc_lo, 0, v65
	v_add3_u32 v2, v84, v73, v71
	v_cndmask_b32_e64 v1, 0, v1, s8
	v_cmp_eq_u32_e64 s1, 0, v64
	v_cmp_eq_u32_e64 s13, 0, v72
	v_and_b32_e32 v4, 15, v81
	v_add3_u32 v2, v2, v70, v69
	v_add_nc_u32_e32 v1, v1, v33
	v_add3_u32 v2, v2, v68, v67
	v_cndmask_b32_e64 v1, 0, v1, s9
	v_add3_u32 v2, v2, v66, v65
	v_add_nc_u32_e32 v1, v1, v34
	v_add3_u32 v2, v2, v64, v72
	v_cndmask_b32_e64 v1, 0, v1, s10
	v_mov_b32_dpp v5, v2 row_shr:1 row_mask:0xf bank_mask:0xf
	v_add_nc_u32_e32 v1, v1, v31
	v_cndmask_b32_e64 v1, 0, v1, s11
	v_add_nc_u32_e32 v1, v1, v32
	v_cndmask_b32_e64 v1, 0, v1, s12
	v_add_nc_u32_e32 v1, v1, v15
	v_cndmask_b32_e64 v1, 0, v1, s6
	v_add_nc_u32_e32 v1, v1, v16
	v_cndmask_b32_e64 v1, 0, v1, s5
	v_add_nc_u32_e32 v1, v1, v13
	v_cndmask_b32_e64 v1, 0, v1, s4
	v_add_nc_u32_e32 v1, v1, v14
	v_cndmask_b32_e64 v1, 0, v1, s3
	v_add_nc_u32_e32 v1, v1, v11
	v_cndmask_b32_e64 v1, 0, v1, s2
	v_add_nc_u32_e32 v1, v1, v12
	v_cndmask_b32_e32 v1, 0, v1, vcc_lo
	v_add_nc_u32_e32 v1, v1, v9
	v_cndmask_b32_e64 v1, 0, v1, s1
	v_add_nc_u32_e32 v1, v1, v10
	v_cndmask_b32_e64 v1, 0, v1, s13
	v_cmp_eq_u32_e64 s13, 0, v2
	v_add_nc_u32_e32 v1, v1, v79
	v_mov_b32_dpp v3, v1 row_shr:1 row_mask:0xf bank_mask:0xf
	v_cndmask_b32_e64 v3, 0, v3, s13
	v_cmp_eq_u32_e64 s13, 0, v4
	v_cndmask_b32_e64 v5, v5, 0, s13
	v_cndmask_b32_e64 v3, v3, 0, s13
	v_cmp_lt_u32_e64 s13, 1, v4
	v_add_nc_u32_e32 v2, v5, v2
	v_add_nc_u32_e32 v1, v3, v1
	v_mov_b32_dpp v3, v2 row_shr:2 row_mask:0xf bank_mask:0xf
	v_cmp_eq_u32_e64 s14, 0, v2
	v_mov_b32_dpp v5, v1 row_shr:2 row_mask:0xf bank_mask:0xf
	v_cndmask_b32_e64 v3, 0, v3, s13
	s_and_b32 s13, s13, s14
	v_cndmask_b32_e64 v5, 0, v5, s13
	v_cmp_lt_u32_e64 s13, 3, v4
	v_add_nc_u32_e32 v2, v2, v3
	v_add_nc_u32_e32 v1, v5, v1
	v_mov_b32_dpp v3, v2 row_shr:4 row_mask:0xf bank_mask:0xf
	v_cmp_eq_u32_e64 s14, 0, v2
	v_mov_b32_dpp v5, v1 row_shr:4 row_mask:0xf bank_mask:0xf
	v_cndmask_b32_e64 v3, 0, v3, s13
	s_and_b32 s13, s13, s14
	v_cndmask_b32_e64 v5, 0, v5, s13
	v_cmp_lt_u32_e64 s13, 7, v4
	v_add_nc_u32_e32 v2, v3, v2
	v_add_nc_u32_e32 v1, v1, v5
	v_bfe_i32 v5, v81, 4, 1
	v_mov_b32_dpp v3, v2 row_shr:8 row_mask:0xf bank_mask:0xf
	v_cmp_eq_u32_e64 s14, 0, v2
	v_mov_b32_dpp v4, v1 row_shr:8 row_mask:0xf bank_mask:0xf
	v_cndmask_b32_e64 v3, 0, v3, s13
	s_and_b32 s13, s13, s14
	s_mov_b32 s14, exec_lo
	v_cndmask_b32_e64 v4, 0, v4, s13
	v_add_nc_u32_e32 v4, v4, v1
	v_add_nc_u32_e32 v1, v3, v2
	ds_swizzle_b32 v2, v4 offset:swizzle(BROADCAST,32,15)
	ds_swizzle_b32 v3, v1 offset:swizzle(BROADCAST,32,15)
	v_cmp_eq_u32_e64 s13, 0, v1
	s_waitcnt lgkmcnt(1)
	v_cndmask_b32_e64 v2, 0, v2, s13
	s_waitcnt lgkmcnt(0)
	v_and_b32_e32 v3, v5, v3
	v_and_b32_e32 v2, v5, v2
	v_add_nc_u32_e32 v1, v3, v1
	v_add_nc_u32_e32 v2, v2, v4
	v_lshlrev_b32_e32 v4, 3, v82
	v_cmpx_eq_u32_e64 v0, v83
; %bb.120:
	ds_write_b64 v4, v[1:2] offset:2064
; %bb.121:
	s_or_b32 exec_lo, exec_lo, s14
	s_mov_b32 s15, exec_lo
	s_waitcnt vmcnt(0) lgkmcnt(0)
	s_barrier
	buffer_gl0_inv
	v_cmpx_gt_u32_e32 8, v0
	s_cbranch_execz .LBB49_123
; %bb.122:
	v_lshlrev_b32_e32 v3, 3, v0
	v_and_b32_e32 v37, 7, v81
	ds_read_b64 v[5:6], v3 offset:2064
	s_waitcnt lgkmcnt(0)
	v_mov_b32_dpp v8, v6 row_shr:1 row_mask:0xf bank_mask:0xf
	v_cmp_eq_u32_e64 s13, 0, v5
	v_mov_b32_dpp v38, v5 row_shr:1 row_mask:0xf bank_mask:0xf
	v_cndmask_b32_e64 v8, 0, v8, s13
	v_cmp_eq_u32_e64 s13, 0, v37
	v_cndmask_b32_e64 v38, v38, 0, s13
	v_cndmask_b32_e64 v8, v8, 0, s13
	v_cmp_lt_u32_e64 s13, 1, v37
	v_add_nc_u32_e32 v5, v38, v5
	v_add_nc_u32_e32 v6, v8, v6
	v_mov_b32_dpp v8, v5 row_shr:2 row_mask:0xf bank_mask:0xf
	v_cmp_eq_u32_e64 s14, 0, v5
	v_mov_b32_dpp v38, v6 row_shr:2 row_mask:0xf bank_mask:0xf
	v_cndmask_b32_e64 v8, 0, v8, s13
	s_and_b32 s13, s13, s14
	v_cndmask_b32_e64 v38, 0, v38, s13
	v_cmp_lt_u32_e64 s13, 3, v37
	v_add_nc_u32_e32 v5, v8, v5
	v_add_nc_u32_e32 v6, v38, v6
	v_mov_b32_dpp v8, v5 row_shr:4 row_mask:0xf bank_mask:0xf
	v_cmp_eq_u32_e64 s14, 0, v5
	v_mov_b32_dpp v37, v6 row_shr:4 row_mask:0xf bank_mask:0xf
	v_cndmask_b32_e64 v8, 0, v8, s13
	s_and_b32 s13, s13, s14
	v_cndmask_b32_e64 v37, 0, v37, s13
	v_add_nc_u32_e32 v5, v8, v5
	v_add_nc_u32_e32 v6, v37, v6
	ds_write_b64 v3, v[5:6] offset:2064
.LBB49_123:
	s_or_b32 exec_lo, exec_lo, s15
	v_mov_b32_e32 v5, 0
	v_mov_b32_e32 v3, 0
	;; [unrolled: 1-line block ×3, first 2 shown]
	s_mov_b32 s14, exec_lo
	s_waitcnt lgkmcnt(0)
	s_barrier
	buffer_gl0_inv
	v_cmpx_lt_u32_e32 31, v0
	s_cbranch_execz .LBB49_125
; %bb.124:
	ds_read_b64 v[3:4], v4 offset:2056
	s_waitcnt lgkmcnt(0)
	v_cmp_eq_u32_e64 s13, 0, v3
	v_cndmask_b32_e64 v6, 0, v7, s13
	v_add_nc_u32_e32 v6, v6, v4
.LBB49_125:
	s_or_b32 exec_lo, exec_lo, s14
	v_sub_co_u32 v4, s13, v81, 1
	v_cmp_gt_i32_e64 s14, 0, v4
	v_cndmask_b32_e64 v4, v4, v81, s14
	v_cmp_eq_u32_e64 s14, 0, v1
	v_add_nc_u32_e32 v1, v3, v1
	v_lshlrev_b32_e32 v4, 2, v4
	v_cndmask_b32_e64 v8, 0, v6, s14
	ds_bpermute_b32 v1, v4, v1
	v_add_nc_u32_e32 v2, v8, v2
	ds_bpermute_b32 v2, v4, v2
	s_waitcnt lgkmcnt(1)
	v_cndmask_b32_e64 v1, v1, v3, s13
	v_cndmask_b32_e64 v57, v1, 0, s0
	s_waitcnt lgkmcnt(0)
	v_cndmask_b32_e64 v2, v2, v6, s13
	v_cmp_eq_u32_e64 s13, 0, v78
	v_add_nc_u32_e32 v61, v57, v78
	v_cndmask_b32_e64 v58, v2, v7, s0
	v_add_nc_u32_e32 v59, v61, v77
	v_cndmask_b32_e64 v2, 0, v58, s13
	v_add_nc_u32_e32 v55, v59, v76
	v_add_nc_u32_e32 v62, v2, v35
	v_add_nc_u32_e32 v51, v55, v75
	v_cndmask_b32_e64 v2, 0, v62, s7
	v_add_nc_u32_e32 v47, v51, v74
	v_add_nc_u32_e32 v60, v2, v36
	;; [unrolled: 4-line block ×4, first 2 shown]
	v_add_nc_u32_e32 v41, v37, v68
	v_cndmask_b32_e64 v2, 0, v52, s10
	v_add_nc_u32_e32 v48, v2, v31
	v_cndmask_b32_e64 v2, 0, v48, s11
	;; [unrolled: 2-line block ×7, first 2 shown]
	v_add_nc_u32_e32 v6, v1, v11
	ds_read_b64 v[1:2], v5 offset:2120
	v_add_nc_u32_e32 v5, v41, v67
	v_cndmask_b32_e64 v3, 0, v6, s2
	v_add_nc_u32_e32 v43, v5, v66
	v_add_nc_u32_e32 v44, v3, v12
	;; [unrolled: 1-line block ×3, first 2 shown]
	v_cndmask_b32_e32 v3, 0, v44, vcc_lo
	v_add_nc_u32_e32 v40, v3, v9
	s_waitcnt lgkmcnt(0)
	v_cmp_eq_u32_e32 vcc_lo, 0, v1
	v_cndmask_b32_e64 v3, 0, v40, s1
	v_cndmask_b32_e32 v4, 0, v7, vcc_lo
	v_add_nc_u32_e32 v7, v39, v64
	v_add_nc_u32_e32 v8, v3, v10
	;; [unrolled: 1-line block ×3, first 2 shown]
	s_and_saveexec_b32 s1, s0
	s_cbranch_execz .LBB49_127
; %bb.126:
	s_add_u32 s2, s36, 0x200
	s_addc_u32 s3, s37, 0
	v_mov_b32_e32 v3, 2
	v_mov_b32_e32 v10, s3
	;; [unrolled: 1-line block ×5, first 2 shown]
	;;#ASMSTART
	global_store_dwordx4 v[9:10], v[1:4] off	
s_waitcnt vmcnt(0)
	;;#ASMEND
.LBB49_127:
	s_or_b32 exec_lo, exec_lo, s1
	v_mov_b32_e32 v3, 0
.LBB49_128:
	s_cmp_eq_u64 s[46:47], 0
	v_mov_b32_e32 v9, 0
	s_cselect_b32 s1, -1, 0
	v_mov_b32_e32 v10, 0
	s_or_b32 s1, s17, s1
	s_and_b32 vcc_lo, exec_lo, s1
	s_barrier
	buffer_gl0_inv
	s_cbranch_vccnz .LBB49_130
; %bb.129:
	v_mov_b32_e32 v2, 0
	global_load_dwordx2 v[9:10], v2, s[46:47]
.LBB49_130:
	v_cmp_eq_u32_e32 vcc_lo, 0, v78
	v_cmp_ne_u32_e64 s15, 0, v78
	v_cmp_ne_u32_e64 s14, 0, v77
	;; [unrolled: 1-line block ×4, first 2 shown]
	v_cndmask_b32_e64 v2, 1, 2, vcc_lo
	v_cmp_eq_u32_e32 vcc_lo, 0, v77
	v_cmp_ne_u32_e64 s11, 0, v74
	v_cmp_ne_u32_e64 s10, 0, v73
	;; [unrolled: 1-line block ×4, first 2 shown]
	v_cndmask_b32_e64 v4, 1, 2, vcc_lo
	v_cmp_eq_u32_e32 vcc_lo, 0, v76
	v_cmp_ne_u32_e64 s9, 0, v69
	v_cmp_ne_u32_e64 s7, 0, v68
	;; [unrolled: 1-line block ×3, first 2 shown]
	v_and_b32_e32 v2, v4, v2
	v_cndmask_b32_e64 v11, 1, 2, vcc_lo
	v_cmp_eq_u32_e32 vcc_lo, 0, v75
	v_cmp_ne_u32_e64 s4, 0, v66
	v_cmp_ne_u32_e64 s3, 0, v65
	;; [unrolled: 1-line block ×3, first 2 shown]
	v_and_b32_e32 v2, v2, v11
	v_cndmask_b32_e64 v4, 1, 2, vcc_lo
	v_cmp_eq_u32_e32 vcc_lo, 0, v74
	v_cmp_ne_u32_e64 s1, 0, v72
	s_mov_b32 s17, -1
	v_and_b32_e32 v2, v2, v4
	v_cndmask_b32_e64 v11, 1, 2, vcc_lo
	v_cmp_eq_u32_e32 vcc_lo, 0, v73
	v_and_b32_e32 v2, v2, v11
	v_cndmask_b32_e64 v4, 1, 2, vcc_lo
	v_cmp_eq_u32_e32 vcc_lo, 0, v71
	s_waitcnt vmcnt(0)
	v_lshlrev_b64 v[11:12], 2, v[9:10]
	v_and_b32_e32 v2, v2, v4
	v_cndmask_b32_e64 v13, 1, 2, vcc_lo
	v_cmp_eq_u32_e32 vcc_lo, 0, v70
	v_mov_b32_e32 v4, 0
	v_and_b32_e32 v2, v2, v13
	v_cndmask_b32_e64 v14, 1, 2, vcc_lo
	v_cmp_eq_u32_e32 vcc_lo, 0, v69
	v_and_b32_e32 v2, v2, v14
	v_cndmask_b32_e64 v13, 1, 2, vcc_lo
	v_cmp_eq_u32_e32 vcc_lo, 0, v68
	;; [unrolled: 3-line block ×5, first 2 shown]
	v_lshlrev_b64 v[13:14], 2, v[3:4]
	v_and_b32_e32 v2, v2, v15
	v_cndmask_b32_e64 v16, 1, 2, vcc_lo
	v_cmp_eq_u32_e32 vcc_lo, 0, v64
	v_and_b32_e32 v16, v2, v16
	v_cndmask_b32_e64 v31, 1, 2, vcc_lo
	v_add_co_u32 v4, vcc_lo, s26, v11
	v_add_co_ci_u32_e64 v15, null, s27, v12, vcc_lo
	v_add_co_u32 v2, vcc_lo, v4, v13
	v_add_co_ci_u32_e64 v4, null, v15, v14, vcc_lo
	v_cmp_eq_u32_e32 vcc_lo, 0, v72
	v_and_b32_e32 v15, v16, v31
	v_cndmask_b32_e64 v16, 1, 2, vcc_lo
	v_cmp_gt_u32_e32 vcc_lo, 0x100, v1
	v_and_b32_e32 v15, v15, v16
	v_cmp_gt_i16_e64 s16, 2, v15
	s_cbranch_vccz .LBB49_137
; %bb.131:
	s_and_saveexec_b32 s17, s16
	s_cbranch_execz .LBB49_136
; %bb.132:
	s_mov_b32 s18, 0
	s_mov_b32 s16, exec_lo
	v_cmpx_ne_u16_e32 1, v15
	s_xor_b32 s16, exec_lo, s16
	s_cbranch_execnz .LBB49_168
; %bb.133:
	s_andn2_saveexec_b32 s16, s16
	s_cbranch_execnz .LBB49_184
.LBB49_134:
	s_or_b32 exec_lo, exec_lo, s16
	s_and_b32 exec_lo, exec_lo, s18
	s_cbranch_execz .LBB49_136
.LBB49_135:
	v_sub_nc_u32_e32 v31, v7, v3
	v_mov_b32_e32 v32, 0
	v_lshlrev_b64 v[31:32], 2, v[31:32]
	v_add_co_u32 v31, vcc_lo, v2, v31
	v_add_co_ci_u32_e64 v32, null, v4, v32, vcc_lo
	global_store_dword v[31:32], v63, off
.LBB49_136:
	s_or_b32 exec_lo, exec_lo, s17
	s_mov_b32 s17, 0
.LBB49_137:
	s_and_b32 vcc_lo, exec_lo, s17
	s_cbranch_vccz .LBB49_147
; %bb.138:
	s_mov_b32 s16, exec_lo
	v_cmpx_gt_i16_e32 2, v15
	s_cbranch_execz .LBB49_143
; %bb.139:
	s_mov_b32 s18, 0
	s_mov_b32 s17, exec_lo
	v_cmpx_ne_u16_e32 1, v15
	s_xor_b32 s17, exec_lo, s17
	s_cbranch_execnz .LBB49_185
; %bb.140:
	s_andn2_saveexec_b32 s1, s17
	s_cbranch_execnz .LBB49_201
.LBB49_141:
	s_or_b32 exec_lo, exec_lo, s1
	s_and_b32 exec_lo, exec_lo, s18
.LBB49_142:
	v_sub_nc_u32_e32 v15, v7, v3
	v_lshlrev_b32_e32 v15, 2, v15
	ds_write_b32 v15, v63
.LBB49_143:
	s_or_b32 exec_lo, exec_lo, s16
	s_mov_b32 s2, exec_lo
	s_waitcnt lgkmcnt(0)
	s_waitcnt_vscnt null, 0x0
	s_barrier
	buffer_gl0_inv
	v_cmpx_lt_u32_e64 v0, v1
	s_cbranch_execz .LBB49_146
; %bb.144:
	v_lshlrev_b32_e32 v17, 2, v0
	v_mov_b32_e32 v16, 0
	v_mov_b32_e32 v15, v0
	s_mov_b32 s3, 0
	.p2align	6
.LBB49_145:                             ; =>This Inner Loop Header: Depth=1
	ds_read_b32 v20, v17
	v_lshlrev_b64 v[18:19], 2, v[15:16]
	v_add_nc_u32_e32 v15, 0x100, v15
	v_add_nc_u32_e32 v17, 0x400, v17
	v_cmp_ge_u32_e32 vcc_lo, v15, v1
	v_add_co_u32 v18, s1, v2, v18
	v_add_co_ci_u32_e64 v19, null, v4, v19, s1
	s_or_b32 s3, vcc_lo, s3
	s_waitcnt lgkmcnt(0)
	global_store_dword v[18:19], v20, off
	s_andn2_b32 exec_lo, exec_lo, s3
	s_cbranch_execnz .LBB49_145
.LBB49_146:
	s_or_b32 exec_lo, exec_lo, s2
.LBB49_147:
	s_cmpk_lg_i32 s33, 0xf00
	v_cndmask_b32_e64 v4, 0, 1, s41
	s_cselect_b32 s1, -1, 0
	v_mad_i32_i24 v16, v0, -15, s33
	s_and_b32 s1, s1, s23
	s_and_b32 s0, s0, s41
	v_cndmask_b32_e64 v15, 0, 1, s1
	s_mul_hi_u32 s1, s33, 0x88888889
	v_cndmask_b32_e64 v17, v78, 0, s0
	s_lshr_b32 s0, s1, 3
	v_sub_nc_u32_e32 v2, v1, v4
	v_cmp_eq_u32_e32 vcc_lo, s0, v0
	v_cmp_ne_u32_e64 s0, 0, v16
	s_mov_b32 s16, -1
	s_waitcnt_vscnt null, 0x0
	v_add_nc_u32_e32 v2, v2, v15
	s_and_b32 vcc_lo, vcc_lo, s23
	v_cndmask_b32_e64 v15, 1, v17, s0
	v_cmp_ne_u32_e64 s0, 1, v16
	s_barrier
	buffer_gl0_inv
	v_cndmask_b32_e32 v15, v17, v15, vcc_lo
	v_cndmask_b32_e64 v18, 1, v77, s0
	v_cmp_ne_u32_e64 s0, 14, v16
	v_cmp_ne_u32_e64 s14, 0, v15
	v_cndmask_b32_e32 v18, v77, v18, vcc_lo
	v_cndmask_b32_e64 v19, 1, v72, s0
	v_cmp_ne_u32_e64 s0, 2, v16
	v_cmp_ne_u32_e64 s13, 0, v18
	v_cndmask_b32_e32 v19, v72, v19, vcc_lo
	v_cndmask_b32_e64 v20, 1, v76, s0
	v_cmp_ne_u32_e64 s0, 3, v16
	v_cndmask_b32_e32 v20, v76, v20, vcc_lo
	v_cndmask_b32_e64 v21, 1, v75, s0
	v_cmp_ne_u32_e64 s0, 4, v16
	v_cmp_ne_u32_e64 s12, 0, v20
	v_cndmask_b32_e32 v21, v75, v21, vcc_lo
	v_cndmask_b32_e64 v17, 1, v74, s0
	v_cmp_ne_u32_e64 s0, 5, v16
	v_cmp_ne_u32_e64 s11, 0, v21
	v_cndmask_b32_e32 v17, v74, v17, vcc_lo
	v_cndmask_b32_e64 v22, 1, v73, s0
	v_cmp_eq_u32_e64 s0, 0, v15
	v_cmp_ne_u32_e64 s10, 0, v17
	v_cndmask_b32_e32 v22, v73, v22, vcc_lo
	v_cndmask_b32_e64 v23, 1, 2, s0
	v_cmp_eq_u32_e64 s0, 0, v18
	v_cmp_ne_u32_e64 s9, 0, v22
	v_cndmask_b32_e64 v24, 1, 2, s0
	v_cmp_ne_u32_e64 s0, 6, v16
	v_and_b32_e32 v23, v24, v23
	v_cndmask_b32_e64 v25, 1, v71, s0
	v_cmp_eq_u32_e64 s0, 0, v20
	v_cndmask_b32_e32 v25, v71, v25, vcc_lo
	v_cndmask_b32_e64 v24, 1, 2, s0
	v_cmp_ne_u32_e64 s0, 7, v16
	v_cmp_ne_u32_e64 s8, 0, v25
	v_and_b32_e32 v23, v23, v24
	v_cndmask_b32_e64 v26, 1, v70, s0
	v_cmp_ne_u32_e64 s0, 8, v16
	v_cndmask_b32_e32 v26, v70, v26, vcc_lo
	v_cndmask_b32_e64 v27, 1, v69, s0
	v_cmp_eq_u32_e64 s0, 0, v21
	v_cmp_ne_u32_e64 s7, 0, v26
	v_cndmask_b32_e32 v27, v69, v27, vcc_lo
	v_cndmask_b32_e64 v24, 1, 2, s0
	v_cmp_ne_u32_e64 s0, 9, v16
	v_cmp_ne_u32_e64 s6, 0, v27
	v_and_b32_e32 v23, v23, v24
	v_cndmask_b32_e64 v28, 1, v68, s0
	v_cmp_eq_u32_e64 s0, 0, v17
	v_cndmask_b32_e32 v28, v68, v28, vcc_lo
	v_cndmask_b32_e64 v24, 1, 2, s0
	v_cmp_ne_u32_e64 s0, 10, v16
	v_cmp_ne_u32_e64 s5, 0, v28
	v_and_b32_e32 v23, v23, v24
	v_cndmask_b32_e64 v29, 1, v67, s0
	v_cmp_ne_u32_e64 s0, 12, v16
	v_cndmask_b32_e32 v29, v67, v29, vcc_lo
	v_cndmask_b32_e64 v30, 1, v65, s0
	v_cmp_eq_u32_e64 s0, 0, v22
	v_cmp_ne_u32_e64 s4, 0, v29
	v_cndmask_b32_e32 v30, v65, v30, vcc_lo
	v_cndmask_b32_e64 v24, 1, 2, s0
	v_cmp_ne_u32_e64 s0, 13, v16
	v_cmp_ne_u32_e64 s2, 0, v30
	v_and_b32_e32 v23, v23, v24
	v_cndmask_b32_e64 v31, 1, v64, s0
	v_cmp_eq_u32_e64 s0, 0, v25
	v_cndmask_b32_e32 v31, v64, v31, vcc_lo
	v_cndmask_b32_e64 v24, 1, 2, s0
	v_cmp_ne_u32_e64 s0, 11, v16
	v_cmp_ne_u32_e64 s1, 0, v31
	v_and_b32_e32 v23, v23, v24
	v_cndmask_b32_e64 v16, 1, v66, s0
	v_cmp_eq_u32_e64 s0, 0, v26
	v_cndmask_b32_e32 v16, v66, v16, vcc_lo
	v_cndmask_b32_e64 v24, 1, 2, s0
	v_cmp_eq_u32_e32 vcc_lo, 0, v27
	v_cmp_ne_u32_e64 s0, 0, v19
	v_cmp_ne_u32_e64 s3, 0, v16
	v_and_b32_e32 v23, v23, v24
	v_cndmask_b32_e64 v24, 1, 2, vcc_lo
	v_add_co_u32 v11, vcc_lo, s28, v11
	v_add_co_ci_u32_e64 v12, null, s29, v12, vcc_lo
	v_cmp_eq_u32_e32 vcc_lo, 0, v28
	v_and_b32_e32 v23, v23, v24
	v_cndmask_b32_e64 v24, 1, 2, vcc_lo
	v_add_co_u32 v11, vcc_lo, v11, v13
	v_add_co_ci_u32_e64 v12, null, v12, v14, vcc_lo
	v_lshlrev_b32_e32 v13, 2, v4
	v_cmp_eq_u32_e32 vcc_lo, 0, v29
	v_and_b32_e32 v14, v23, v24
	v_add_nc_u32_e32 v4, v3, v4
	v_cndmask_b32_e64 v23, 1, 2, vcc_lo
	v_add_co_u32 v13, vcc_lo, v11, v13
	v_add_co_ci_u32_e64 v24, null, 0, v12, vcc_lo
	v_cmp_eq_u32_e32 vcc_lo, 0, v16
	v_and_b32_e32 v23, v14, v23
	v_cndmask_b32_e64 v32, 1, 2, vcc_lo
	v_add_co_u32 v13, vcc_lo, v13, -4
	v_add_co_ci_u32_e64 v14, null, -1, v24, vcc_lo
	v_cmp_eq_u32_e32 vcc_lo, 0, v30
	v_and_b32_e32 v23, v23, v32
	v_cndmask_b32_e64 v24, 1, 2, vcc_lo
	v_cmp_eq_u32_e32 vcc_lo, 0, v31
	v_and_b32_e32 v15, v23, v24
	v_cndmask_b32_e64 v18, 1, 2, vcc_lo
	;; [unrolled: 3-line block ×3, first 2 shown]
	v_cmp_gt_u32_e32 vcc_lo, 0x100, v2
	v_and_b32_e32 v15, v15, v17
	v_cmp_gt_i16_e64 s15, 2, v15
	s_cbranch_vccnz .LBB49_151
; %bb.148:
	s_and_b32 vcc_lo, exec_lo, s16
	s_cbranch_vccnz .LBB49_157
.LBB49_149:
	v_cmp_eq_u32_e32 vcc_lo, 0xff, v0
	s_and_b32 s0, vcc_lo, s23
	s_and_saveexec_b32 s1, s0
	s_cbranch_execnz .LBB49_166
.LBB49_150:
	s_endpgm
.LBB49_151:
	s_and_saveexec_b32 s16, s15
	s_cbranch_execz .LBB49_156
; %bb.152:
	s_mov_b32 s17, 0
	s_mov_b32 s15, exec_lo
	v_cmpx_ne_u16_e32 1, v15
	s_xor_b32 s15, exec_lo, s15
	s_cbranch_execnz .LBB49_202
; %bb.153:
	s_andn2_saveexec_b32 s15, s15
	s_cbranch_execnz .LBB49_218
.LBB49_154:
	s_or_b32 exec_lo, exec_lo, s15
	s_and_b32 exec_lo, exec_lo, s17
	s_cbranch_execz .LBB49_156
.LBB49_155:
	v_sub_nc_u32_e32 v16, v7, v4
	v_mov_b32_e32 v17, 0
	v_lshlrev_b64 v[16:17], 2, v[16:17]
	v_add_co_u32 v16, vcc_lo, v13, v16
	v_add_co_ci_u32_e64 v17, null, v14, v17, vcc_lo
	global_store_dword v[16:17], v8, off
.LBB49_156:
	s_or_b32 exec_lo, exec_lo, s16
	s_branch .LBB49_149
.LBB49_157:
	s_mov_b32 s15, exec_lo
	v_cmpx_gt_i16_e32 2, v15
	s_cbranch_execz .LBB49_162
; %bb.158:
	s_mov_b32 s17, 0
	s_mov_b32 s16, exec_lo
	v_cmpx_ne_u16_e32 1, v15
	s_xor_b32 s16, exec_lo, s16
	s_cbranch_execnz .LBB49_219
; %bb.159:
	s_andn2_saveexec_b32 s0, s16
	s_cbranch_execnz .LBB49_235
.LBB49_160:
	s_or_b32 exec_lo, exec_lo, s0
	s_and_b32 exec_lo, exec_lo, s17
.LBB49_161:
	v_sub_nc_u32_e32 v4, v7, v4
	v_lshlrev_b32_e32 v4, 2, v4
	ds_write_b32 v4, v8
.LBB49_162:
	s_or_b32 exec_lo, exec_lo, s15
	s_mov_b32 s1, exec_lo
	s_waitcnt lgkmcnt(0)
	s_waitcnt_vscnt null, 0x0
	s_barrier
	buffer_gl0_inv
	v_cmpx_lt_u32_e64 v0, v2
	s_cbranch_execz .LBB49_165
; %bb.163:
	v_lshlrev_b32_e32 v6, 2, v0
	v_mov_b32_e32 v5, 0
	v_mov_b32_e32 v4, v0
	s_mov_b32 s2, 0
	.p2align	6
.LBB49_164:                             ; =>This Inner Loop Header: Depth=1
	ds_read_b32 v15, v6
	v_lshlrev_b64 v[7:8], 2, v[4:5]
	v_add_nc_u32_e32 v4, 0x100, v4
	v_add_nc_u32_e32 v6, 0x400, v6
	v_cmp_ge_u32_e32 vcc_lo, v4, v2
	v_add_co_u32 v7, s0, v13, v7
	v_add_co_ci_u32_e64 v8, null, v14, v8, s0
	s_or_b32 s2, vcc_lo, s2
	s_waitcnt lgkmcnt(0)
	global_store_dword v[7:8], v15, off
	s_andn2_b32 exec_lo, exec_lo, s2
	s_cbranch_execnz .LBB49_164
.LBB49_165:
	s_or_b32 exec_lo, exec_lo, s1
	v_cmp_eq_u32_e32 vcc_lo, 0xff, v0
	s_and_b32 s0, vcc_lo, s23
	s_and_saveexec_b32 s1, s0
	s_cbranch_execz .LBB49_150
.LBB49_166:
	v_add_co_u32 v0, s0, v1, v3
	v_add_co_ci_u32_e64 v4, null, 0, 0, s0
	v_mov_b32_e32 v2, 0
	v_add_co_u32 v3, vcc_lo, v0, v9
	v_add_co_ci_u32_e64 v4, null, v4, v10, vcc_lo
	s_cmpk_lg_i32 s33, 0xf00
	global_store_dwordx2 v2, v[3:4], s[30:31]
	s_cbranch_scc1 .LBB49_150
; %bb.167:
	v_lshlrev_b64 v[0:1], 2, v[1:2]
	v_add_co_u32 v0, vcc_lo, v11, v0
	v_add_co_ci_u32_e64 v1, null, v12, v1, vcc_lo
	global_store_dword v[0:1], v80, off offset:-4
	s_endpgm
.LBB49_168:
	s_and_saveexec_b32 s18, s15
	s_cbranch_execnz .LBB49_236
; %bb.169:
	s_or_b32 exec_lo, exec_lo, s18
	s_and_saveexec_b32 s18, s14
	s_cbranch_execnz .LBB49_237
.LBB49_170:
	s_or_b32 exec_lo, exec_lo, s18
	s_and_saveexec_b32 s18, s13
	s_cbranch_execnz .LBB49_238
.LBB49_171:
	s_or_b32 exec_lo, exec_lo, s18
	s_and_saveexec_b32 s18, s12
	s_cbranch_execnz .LBB49_239
.LBB49_172:
	s_or_b32 exec_lo, exec_lo, s18
	s_and_saveexec_b32 s18, s11
	s_cbranch_execnz .LBB49_240
.LBB49_173:
	s_or_b32 exec_lo, exec_lo, s18
	s_and_saveexec_b32 s18, s10
	s_cbranch_execnz .LBB49_241
.LBB49_174:
	s_or_b32 exec_lo, exec_lo, s18
	s_and_saveexec_b32 s18, s8
	s_cbranch_execnz .LBB49_242
.LBB49_175:
	s_or_b32 exec_lo, exec_lo, s18
	s_and_saveexec_b32 s18, s6
	s_cbranch_execnz .LBB49_243
.LBB49_176:
	s_or_b32 exec_lo, exec_lo, s18
	s_and_saveexec_b32 s18, s9
	s_cbranch_execnz .LBB49_244
.LBB49_177:
	s_or_b32 exec_lo, exec_lo, s18
	s_and_saveexec_b32 s18, s7
	s_cbranch_execnz .LBB49_245
.LBB49_178:
	s_or_b32 exec_lo, exec_lo, s18
	s_and_saveexec_b32 s18, s5
	s_cbranch_execnz .LBB49_246
.LBB49_179:
	s_or_b32 exec_lo, exec_lo, s18
	s_and_saveexec_b32 s18, s4
	s_cbranch_execnz .LBB49_247
.LBB49_180:
	s_or_b32 exec_lo, exec_lo, s18
	s_and_saveexec_b32 s18, s3
	s_cbranch_execnz .LBB49_248
.LBB49_181:
	s_or_b32 exec_lo, exec_lo, s18
	s_and_saveexec_b32 s18, s2
	s_cbranch_execz .LBB49_183
.LBB49_182:
	v_sub_nc_u32_e32 v31, v39, v3
	v_mov_b32_e32 v32, 0
	v_lshlrev_b64 v[31:32], 2, v[31:32]
	v_add_co_u32 v31, vcc_lo, v2, v31
	v_add_co_ci_u32_e64 v32, null, v4, v32, vcc_lo
	global_store_dword v[31:32], v18, off
.LBB49_183:
	s_or_b32 exec_lo, exec_lo, s18
	s_and_b32 s18, s1, exec_lo
	s_andn2_saveexec_b32 s16, s16
	s_cbranch_execz .LBB49_134
.LBB49_184:
	v_sub_nc_u32_e32 v31, v57, v3
	v_mov_b32_e32 v32, 0
	s_or_b32 s18, s18, exec_lo
	v_lshlrev_b64 v[33:34], 2, v[31:32]
	v_sub_nc_u32_e32 v31, v61, v3
	v_lshlrev_b64 v[35:36], 2, v[31:32]
	v_sub_nc_u32_e32 v31, v59, v3
	v_add_co_u32 v33, vcc_lo, v2, v33
	v_add_co_ci_u32_e64 v34, null, v4, v34, vcc_lo
	v_lshlrev_b64 v[81:82], 2, v[31:32]
	v_sub_nc_u32_e32 v31, v55, v3
	v_add_co_u32 v35, vcc_lo, v2, v35
	v_add_co_ci_u32_e64 v36, null, v4, v36, vcc_lo
	global_store_dword v[33:34], v29, off
	v_lshlrev_b64 v[33:34], 2, v[31:32]
	v_sub_nc_u32_e32 v31, v51, v3
	global_store_dword v[35:36], v30, off
	v_add_co_u32 v35, vcc_lo, v2, v81
	v_add_co_ci_u32_e64 v36, null, v4, v82, vcc_lo
	v_lshlrev_b64 v[81:82], 2, v[31:32]
	v_sub_nc_u32_e32 v31, v47, v3
	v_add_co_u32 v33, vcc_lo, v2, v33
	v_add_co_ci_u32_e64 v34, null, v4, v34, vcc_lo
	v_lshlrev_b64 v[83:84], 2, v[31:32]
	v_sub_nc_u32_e32 v31, v45, v3
	;; [unrolled: 4-line block ×3, first 2 shown]
	v_add_co_u32 v83, vcc_lo, v2, v83
	v_add_co_ci_u32_e64 v84, null, v4, v84, vcc_lo
	global_store_dword v[35:36], v27, off
	global_store_dword v[33:34], v28, off
	;; [unrolled: 1-line block ×4, first 2 shown]
	v_lshlrev_b64 v[33:34], 2, v[31:32]
	v_sub_nc_u32_e32 v31, v53, v3
	v_add_co_u32 v35, vcc_lo, v2, v85
	v_add_co_ci_u32_e64 v36, null, v4, v86, vcc_lo
	v_lshlrev_b64 v[81:82], 2, v[31:32]
	v_sub_nc_u32_e32 v31, v37, v3
	v_add_co_u32 v33, vcc_lo, v2, v33
	v_add_co_ci_u32_e64 v34, null, v4, v34, vcc_lo
	v_lshlrev_b64 v[83:84], 2, v[31:32]
	v_sub_nc_u32_e32 v31, v41, v3
	v_add_co_u32 v81, vcc_lo, v2, v81
	v_add_co_ci_u32_e64 v82, null, v4, v82, vcc_lo
	v_lshlrev_b64 v[85:86], 2, v[31:32]
	v_sub_nc_u32_e32 v31, v5, v3
	v_add_co_u32 v83, vcc_lo, v2, v83
	v_add_co_ci_u32_e64 v84, null, v4, v84, vcc_lo
	global_store_dword v[35:36], v23, off
	global_store_dword v[33:34], v24, off
	;; [unrolled: 1-line block ×4, first 2 shown]
	v_lshlrev_b64 v[33:34], 2, v[31:32]
	v_sub_nc_u32_e32 v31, v43, v3
	v_add_co_u32 v35, vcc_lo, v2, v85
	v_add_co_ci_u32_e64 v36, null, v4, v86, vcc_lo
	v_lshlrev_b64 v[81:82], 2, v[31:32]
	v_sub_nc_u32_e32 v31, v39, v3
	v_add_co_u32 v33, vcc_lo, v2, v33
	v_add_co_ci_u32_e64 v34, null, v4, v34, vcc_lo
	v_lshlrev_b64 v[31:32], 2, v[31:32]
	v_add_co_u32 v81, vcc_lo, v2, v81
	v_add_co_ci_u32_e64 v82, null, v4, v82, vcc_lo
	global_store_dword v[35:36], v19, off
	global_store_dword v[33:34], v20, off
	;; [unrolled: 1-line block ×3, first 2 shown]
	v_add_co_u32 v31, vcc_lo, v2, v31
	v_add_co_ci_u32_e64 v32, null, v4, v32, vcc_lo
	global_store_dword v[31:32], v18, off
	s_or_b32 exec_lo, exec_lo, s16
	s_and_b32 exec_lo, exec_lo, s18
	s_cbranch_execnz .LBB49_135
	s_branch .LBB49_136
.LBB49_185:
	s_and_saveexec_b32 s18, s15
	s_cbranch_execnz .LBB49_249
; %bb.186:
	s_or_b32 exec_lo, exec_lo, s18
	s_and_saveexec_b32 s15, s14
	s_cbranch_execnz .LBB49_250
.LBB49_187:
	s_or_b32 exec_lo, exec_lo, s15
	s_and_saveexec_b32 s14, s13
	s_cbranch_execnz .LBB49_251
.LBB49_188:
	s_or_b32 exec_lo, exec_lo, s14
	s_and_saveexec_b32 s13, s12
	s_cbranch_execnz .LBB49_252
.LBB49_189:
	s_or_b32 exec_lo, exec_lo, s13
	s_and_saveexec_b32 s12, s11
	s_cbranch_execnz .LBB49_253
.LBB49_190:
	s_or_b32 exec_lo, exec_lo, s12
	s_and_saveexec_b32 s11, s10
	s_cbranch_execnz .LBB49_254
.LBB49_191:
	s_or_b32 exec_lo, exec_lo, s11
	s_and_saveexec_b32 s10, s8
	s_cbranch_execnz .LBB49_255
.LBB49_192:
	s_or_b32 exec_lo, exec_lo, s10
	s_and_saveexec_b32 s8, s6
	s_cbranch_execnz .LBB49_256
.LBB49_193:
	s_or_b32 exec_lo, exec_lo, s8
	s_and_saveexec_b32 s6, s9
	s_cbranch_execnz .LBB49_257
.LBB49_194:
	s_or_b32 exec_lo, exec_lo, s6
	s_and_saveexec_b32 s6, s7
	s_cbranch_execnz .LBB49_258
.LBB49_195:
	s_or_b32 exec_lo, exec_lo, s6
	s_and_saveexec_b32 s6, s5
	s_cbranch_execnz .LBB49_259
.LBB49_196:
	s_or_b32 exec_lo, exec_lo, s6
	s_and_saveexec_b32 s5, s4
	s_cbranch_execnz .LBB49_260
.LBB49_197:
	s_or_b32 exec_lo, exec_lo, s5
	s_and_saveexec_b32 s4, s3
	s_cbranch_execnz .LBB49_261
.LBB49_198:
	s_or_b32 exec_lo, exec_lo, s4
	s_and_saveexec_b32 s3, s2
.LBB49_199:
	v_sub_nc_u32_e32 v15, v39, v3
	v_lshlrev_b32_e32 v15, 2, v15
	ds_write_b32 v15, v18
.LBB49_200:
	s_or_b32 exec_lo, exec_lo, s3
	s_and_b32 s18, s1, exec_lo
                                        ; implicit-def: $vgpr29
                                        ; implicit-def: $vgpr27
                                        ; implicit-def: $vgpr25
                                        ; implicit-def: $vgpr23
                                        ; implicit-def: $vgpr21
                                        ; implicit-def: $vgpr19
                                        ; implicit-def: $vgpr17
	s_andn2_saveexec_b32 s1, s17
	s_cbranch_execz .LBB49_141
.LBB49_201:
	v_sub_nc_u32_e32 v15, v57, v3
	v_sub_nc_u32_e32 v16, v61, v3
	;; [unrolled: 1-line block ×4, first 2 shown]
	s_or_b32 s18, s18, exec_lo
	v_lshlrev_b32_e32 v15, 2, v15
	v_lshlrev_b32_e32 v16, 2, v16
	;; [unrolled: 1-line block ×4, first 2 shown]
	ds_write_b32 v15, v29
	ds_write_b32 v16, v30
	;; [unrolled: 1-line block ×3, first 2 shown]
	v_sub_nc_u32_e32 v15, v51, v3
	v_sub_nc_u32_e32 v16, v47, v3
	;; [unrolled: 1-line block ×3, first 2 shown]
	ds_write_b32 v32, v28
	v_sub_nc_u32_e32 v28, v49, v3
	v_lshlrev_b32_e32 v15, 2, v15
	v_sub_nc_u32_e32 v29, v53, v3
	v_lshlrev_b32_e32 v16, 2, v16
	v_lshlrev_b32_e32 v27, 2, v27
	;; [unrolled: 1-line block ×3, first 2 shown]
	ds_write_b32 v15, v25
	v_lshlrev_b32_e32 v15, 2, v29
	ds_write_b32 v16, v26
	ds_write_b32 v27, v23
	;; [unrolled: 1-line block ×3, first 2 shown]
	v_sub_nc_u32_e32 v16, v37, v3
	v_sub_nc_u32_e32 v24, v39, v3
	;; [unrolled: 1-line block ×3, first 2 shown]
	ds_write_b32 v15, v21
	v_sub_nc_u32_e32 v15, v41, v3
	v_lshlrev_b32_e32 v16, 2, v16
	v_sub_nc_u32_e32 v21, v5, v3
	v_lshlrev_b32_e32 v23, 2, v23
	v_lshlrev_b32_e32 v15, 2, v15
	ds_write_b32 v16, v22
	v_lshlrev_b32_e32 v16, 2, v24
	v_lshlrev_b32_e32 v21, 2, v21
	ds_write_b32 v15, v19
	ds_write_b32 v21, v20
	;; [unrolled: 1-line block ×4, first 2 shown]
	s_or_b32 exec_lo, exec_lo, s1
	s_and_b32 exec_lo, exec_lo, s18
	s_cbranch_execnz .LBB49_142
	s_branch .LBB49_143
.LBB49_202:
	s_and_saveexec_b32 s17, s14
	s_cbranch_execnz .LBB49_262
; %bb.203:
	s_or_b32 exec_lo, exec_lo, s17
	s_and_saveexec_b32 s17, s13
	s_cbranch_execnz .LBB49_263
.LBB49_204:
	s_or_b32 exec_lo, exec_lo, s17
	s_and_saveexec_b32 s17, s12
	s_cbranch_execnz .LBB49_264
.LBB49_205:
	s_or_b32 exec_lo, exec_lo, s17
	s_and_saveexec_b32 s17, s11
	s_cbranch_execnz .LBB49_265
.LBB49_206:
	s_or_b32 exec_lo, exec_lo, s17
	s_and_saveexec_b32 s17, s10
	s_cbranch_execnz .LBB49_266
.LBB49_207:
	s_or_b32 exec_lo, exec_lo, s17
	s_and_saveexec_b32 s17, s9
	s_cbranch_execnz .LBB49_267
.LBB49_208:
	s_or_b32 exec_lo, exec_lo, s17
	s_and_saveexec_b32 s17, s8
	s_cbranch_execnz .LBB49_268
.LBB49_209:
	s_or_b32 exec_lo, exec_lo, s17
	s_and_saveexec_b32 s17, s7
	s_cbranch_execnz .LBB49_269
.LBB49_210:
	s_or_b32 exec_lo, exec_lo, s17
	s_and_saveexec_b32 s17, s6
	s_cbranch_execnz .LBB49_270
.LBB49_211:
	s_or_b32 exec_lo, exec_lo, s17
	s_and_saveexec_b32 s17, s5
	s_cbranch_execnz .LBB49_271
.LBB49_212:
	s_or_b32 exec_lo, exec_lo, s17
	s_and_saveexec_b32 s17, s4
	s_cbranch_execnz .LBB49_272
.LBB49_213:
	s_or_b32 exec_lo, exec_lo, s17
	s_and_saveexec_b32 s17, s3
	s_cbranch_execnz .LBB49_273
.LBB49_214:
	s_or_b32 exec_lo, exec_lo, s17
	s_and_saveexec_b32 s17, s2
	s_cbranch_execnz .LBB49_274
.LBB49_215:
	s_or_b32 exec_lo, exec_lo, s17
	s_and_saveexec_b32 s17, s1
	s_cbranch_execz .LBB49_217
.LBB49_216:
	v_sub_nc_u32_e32 v16, v39, v4
	v_mov_b32_e32 v17, 0
	v_lshlrev_b64 v[16:17], 2, v[16:17]
	v_add_co_u32 v16, vcc_lo, v13, v16
	v_add_co_ci_u32_e64 v17, null, v14, v17, vcc_lo
	global_store_dword v[16:17], v40, off
.LBB49_217:
	s_or_b32 exec_lo, exec_lo, s17
	s_and_b32 s17, s0, exec_lo
	s_andn2_saveexec_b32 s15, s15
	s_cbranch_execz .LBB49_154
.LBB49_218:
	v_sub_nc_u32_e32 v16, v57, v4
	v_mov_b32_e32 v17, 0
	s_or_b32 s17, s17, exec_lo
	v_lshlrev_b64 v[18:19], 2, v[16:17]
	v_sub_nc_u32_e32 v16, v61, v4
	v_lshlrev_b64 v[20:21], 2, v[16:17]
	v_sub_nc_u32_e32 v16, v59, v4
	v_add_co_u32 v18, vcc_lo, v13, v18
	v_add_co_ci_u32_e64 v19, null, v14, v19, vcc_lo
	v_lshlrev_b64 v[22:23], 2, v[16:17]
	v_sub_nc_u32_e32 v16, v55, v4
	v_add_co_u32 v20, vcc_lo, v13, v20
	v_add_co_ci_u32_e64 v21, null, v14, v21, vcc_lo
	global_store_dword v[18:19], v58, off
	v_lshlrev_b64 v[18:19], 2, v[16:17]
	v_sub_nc_u32_e32 v16, v51, v4
	global_store_dword v[20:21], v62, off
	v_add_co_u32 v20, vcc_lo, v13, v22
	v_add_co_ci_u32_e64 v21, null, v14, v23, vcc_lo
	v_lshlrev_b64 v[22:23], 2, v[16:17]
	v_sub_nc_u32_e32 v16, v47, v4
	v_add_co_u32 v18, vcc_lo, v13, v18
	v_add_co_ci_u32_e64 v19, null, v14, v19, vcc_lo
	v_lshlrev_b64 v[24:25], 2, v[16:17]
	v_sub_nc_u32_e32 v16, v45, v4
	v_add_co_u32 v22, vcc_lo, v13, v22
	v_add_co_ci_u32_e64 v23, null, v14, v23, vcc_lo
	v_lshlrev_b64 v[26:27], 2, v[16:17]
	v_sub_nc_u32_e32 v16, v49, v4
	v_add_co_u32 v24, vcc_lo, v13, v24
	v_add_co_ci_u32_e64 v25, null, v14, v25, vcc_lo
	global_store_dword v[20:21], v60, off
	global_store_dword v[18:19], v56, off
	;; [unrolled: 1-line block ×4, first 2 shown]
	v_lshlrev_b64 v[18:19], 2, v[16:17]
	v_sub_nc_u32_e32 v16, v53, v4
	v_add_co_u32 v20, vcc_lo, v13, v26
	v_add_co_ci_u32_e64 v21, null, v14, v27, vcc_lo
	v_lshlrev_b64 v[22:23], 2, v[16:17]
	v_sub_nc_u32_e32 v16, v37, v4
	v_add_co_u32 v18, vcc_lo, v13, v18
	v_add_co_ci_u32_e64 v19, null, v14, v19, vcc_lo
	;; [unrolled: 4-line block ×4, first 2 shown]
	global_store_dword v[20:21], v46, off
	global_store_dword v[18:19], v50, off
	;; [unrolled: 1-line block ×4, first 2 shown]
	v_lshlrev_b64 v[18:19], 2, v[16:17]
	v_sub_nc_u32_e32 v16, v43, v4
	v_add_co_u32 v20, vcc_lo, v13, v26
	v_add_co_ci_u32_e64 v21, null, v14, v27, vcc_lo
	v_lshlrev_b64 v[22:23], 2, v[16:17]
	v_sub_nc_u32_e32 v16, v39, v4
	v_add_co_u32 v18, vcc_lo, v13, v18
	v_add_co_ci_u32_e64 v19, null, v14, v19, vcc_lo
	v_lshlrev_b64 v[16:17], 2, v[16:17]
	v_add_co_u32 v22, vcc_lo, v13, v22
	v_add_co_ci_u32_e64 v23, null, v14, v23, vcc_lo
	global_store_dword v[20:21], v42, off
	global_store_dword v[18:19], v6, off
	;; [unrolled: 1-line block ×3, first 2 shown]
	v_add_co_u32 v16, vcc_lo, v13, v16
	v_add_co_ci_u32_e64 v17, null, v14, v17, vcc_lo
	global_store_dword v[16:17], v40, off
	s_or_b32 exec_lo, exec_lo, s15
	s_and_b32 exec_lo, exec_lo, s17
	s_cbranch_execnz .LBB49_155
	s_branch .LBB49_156
.LBB49_219:
	s_and_saveexec_b32 s17, s14
	s_cbranch_execnz .LBB49_275
; %bb.220:
	s_or_b32 exec_lo, exec_lo, s17
	s_and_saveexec_b32 s14, s13
	s_cbranch_execnz .LBB49_276
.LBB49_221:
	s_or_b32 exec_lo, exec_lo, s14
	s_and_saveexec_b32 s13, s12
	s_cbranch_execnz .LBB49_277
.LBB49_222:
	s_or_b32 exec_lo, exec_lo, s13
	s_and_saveexec_b32 s12, s11
	s_cbranch_execnz .LBB49_278
.LBB49_223:
	s_or_b32 exec_lo, exec_lo, s12
	s_and_saveexec_b32 s11, s10
	s_cbranch_execnz .LBB49_279
.LBB49_224:
	s_or_b32 exec_lo, exec_lo, s11
	s_and_saveexec_b32 s10, s9
	s_cbranch_execnz .LBB49_280
.LBB49_225:
	s_or_b32 exec_lo, exec_lo, s10
	s_and_saveexec_b32 s9, s8
	s_cbranch_execnz .LBB49_281
.LBB49_226:
	s_or_b32 exec_lo, exec_lo, s9
	s_and_saveexec_b32 s8, s7
	s_cbranch_execnz .LBB49_282
.LBB49_227:
	s_or_b32 exec_lo, exec_lo, s8
	s_and_saveexec_b32 s7, s6
	s_cbranch_execnz .LBB49_283
.LBB49_228:
	s_or_b32 exec_lo, exec_lo, s7
	s_and_saveexec_b32 s6, s5
	s_cbranch_execnz .LBB49_284
.LBB49_229:
	s_or_b32 exec_lo, exec_lo, s6
	s_and_saveexec_b32 s5, s4
	s_cbranch_execnz .LBB49_285
.LBB49_230:
	s_or_b32 exec_lo, exec_lo, s5
	s_and_saveexec_b32 s4, s3
	s_cbranch_execnz .LBB49_286
.LBB49_231:
	s_or_b32 exec_lo, exec_lo, s4
	s_and_saveexec_b32 s3, s2
	s_cbranch_execnz .LBB49_287
.LBB49_232:
	s_or_b32 exec_lo, exec_lo, s3
	s_and_saveexec_b32 s2, s1
.LBB49_233:
	v_sub_nc_u32_e32 v5, v39, v4
	v_lshlrev_b32_e32 v5, 2, v5
	ds_write_b32 v5, v40
.LBB49_234:
	s_or_b32 exec_lo, exec_lo, s2
	s_and_b32 s17, s0, exec_lo
                                        ; implicit-def: $vgpr39_vgpr40
                                        ; implicit-def: $vgpr43_vgpr44
                                        ; implicit-def: $vgpr5_vgpr6
                                        ; implicit-def: $vgpr57_vgpr58
                                        ; implicit-def: $vgpr61_vgpr62
                                        ; implicit-def: $vgpr59_vgpr60
                                        ; implicit-def: $vgpr55_vgpr56
                                        ; implicit-def: $vgpr51_vgpr52
                                        ; implicit-def: $vgpr47_vgpr48
                                        ; implicit-def: $vgpr45_vgpr46
                                        ; implicit-def: $vgpr49_vgpr50
                                        ; implicit-def: $vgpr53_vgpr54
                                        ; implicit-def: $vgpr37_vgpr38
                                        ; implicit-def: $vgpr41_vgpr42
	s_andn2_saveexec_b32 s0, s16
	s_cbranch_execz .LBB49_160
.LBB49_235:
	v_sub_nc_u32_e32 v15, v57, v4
	v_sub_nc_u32_e32 v16, v61, v4
	;; [unrolled: 1-line block ×5, first 2 shown]
	v_lshlrev_b32_e32 v15, 2, v15
	v_lshlrev_b32_e32 v16, 2, v16
	;; [unrolled: 1-line block ×4, first 2 shown]
	v_sub_nc_u32_e32 v5, v5, v4
	ds_write_b32 v15, v58
	ds_write_b32 v16, v62
	ds_write_b32 v17, v60
	v_sub_nc_u32_e32 v15, v51, v4
	v_sub_nc_u32_e32 v16, v47, v4
	;; [unrolled: 1-line block ×3, first 2 shown]
	ds_write_b32 v18, v56
	v_sub_nc_u32_e32 v18, v49, v4
	v_lshlrev_b32_e32 v15, 2, v15
	v_lshlrev_b32_e32 v16, 2, v16
	;; [unrolled: 1-line block ×5, first 2 shown]
	ds_write_b32 v15, v52
	v_lshlrev_b32_e32 v15, 2, v19
	ds_write_b32 v16, v48
	ds_write_b32 v17, v46
	;; [unrolled: 1-line block ×3, first 2 shown]
	v_sub_nc_u32_e32 v16, v37, v4
	v_sub_nc_u32_e32 v18, v39, v4
	;; [unrolled: 1-line block ×3, first 2 shown]
	ds_write_b32 v15, v54
	v_sub_nc_u32_e32 v15, v41, v4
	v_lshlrev_b32_e32 v16, 2, v16
	s_or_b32 s17, s17, exec_lo
	v_lshlrev_b32_e32 v17, 2, v17
	v_lshlrev_b32_e32 v15, 2, v15
	ds_write_b32 v16, v38
	v_lshlrev_b32_e32 v16, 2, v18
	ds_write_b32 v15, v42
	ds_write_b32 v5, v6
	;; [unrolled: 1-line block ×4, first 2 shown]
	s_or_b32 exec_lo, exec_lo, s0
	s_and_b32 exec_lo, exec_lo, s17
	s_cbranch_execnz .LBB49_161
	s_branch .LBB49_162
.LBB49_236:
	v_sub_nc_u32_e32 v31, v57, v3
	v_mov_b32_e32 v32, 0
	v_lshlrev_b64 v[31:32], 2, v[31:32]
	v_add_co_u32 v31, vcc_lo, v2, v31
	v_add_co_ci_u32_e64 v32, null, v4, v32, vcc_lo
	global_store_dword v[31:32], v29, off
	s_or_b32 exec_lo, exec_lo, s18
	s_and_saveexec_b32 s18, s14
	s_cbranch_execz .LBB49_170
.LBB49_237:
	v_sub_nc_u32_e32 v31, v61, v3
	v_mov_b32_e32 v32, 0
	v_lshlrev_b64 v[31:32], 2, v[31:32]
	v_add_co_u32 v31, vcc_lo, v2, v31
	v_add_co_ci_u32_e64 v32, null, v4, v32, vcc_lo
	global_store_dword v[31:32], v30, off
	s_or_b32 exec_lo, exec_lo, s18
	s_and_saveexec_b32 s18, s13
	s_cbranch_execz .LBB49_171
.LBB49_238:
	v_sub_nc_u32_e32 v31, v59, v3
	v_mov_b32_e32 v32, 0
	v_lshlrev_b64 v[31:32], 2, v[31:32]
	v_add_co_u32 v31, vcc_lo, v2, v31
	v_add_co_ci_u32_e64 v32, null, v4, v32, vcc_lo
	global_store_dword v[31:32], v27, off
	s_or_b32 exec_lo, exec_lo, s18
	s_and_saveexec_b32 s18, s12
	s_cbranch_execz .LBB49_172
.LBB49_239:
	v_sub_nc_u32_e32 v31, v55, v3
	v_mov_b32_e32 v32, 0
	v_lshlrev_b64 v[31:32], 2, v[31:32]
	v_add_co_u32 v31, vcc_lo, v2, v31
	v_add_co_ci_u32_e64 v32, null, v4, v32, vcc_lo
	global_store_dword v[31:32], v28, off
	s_or_b32 exec_lo, exec_lo, s18
	s_and_saveexec_b32 s18, s11
	s_cbranch_execz .LBB49_173
.LBB49_240:
	v_sub_nc_u32_e32 v31, v51, v3
	v_mov_b32_e32 v32, 0
	v_lshlrev_b64 v[31:32], 2, v[31:32]
	v_add_co_u32 v31, vcc_lo, v2, v31
	v_add_co_ci_u32_e64 v32, null, v4, v32, vcc_lo
	global_store_dword v[31:32], v25, off
	s_or_b32 exec_lo, exec_lo, s18
	s_and_saveexec_b32 s18, s10
	s_cbranch_execz .LBB49_174
.LBB49_241:
	v_sub_nc_u32_e32 v31, v47, v3
	v_mov_b32_e32 v32, 0
	v_lshlrev_b64 v[31:32], 2, v[31:32]
	v_add_co_u32 v31, vcc_lo, v2, v31
	v_add_co_ci_u32_e64 v32, null, v4, v32, vcc_lo
	global_store_dword v[31:32], v26, off
	s_or_b32 exec_lo, exec_lo, s18
	s_and_saveexec_b32 s18, s8
	s_cbranch_execz .LBB49_175
.LBB49_242:
	v_sub_nc_u32_e32 v31, v45, v3
	v_mov_b32_e32 v32, 0
	v_lshlrev_b64 v[31:32], 2, v[31:32]
	v_add_co_u32 v31, vcc_lo, v2, v31
	v_add_co_ci_u32_e64 v32, null, v4, v32, vcc_lo
	global_store_dword v[31:32], v23, off
	s_or_b32 exec_lo, exec_lo, s18
	s_and_saveexec_b32 s18, s6
	s_cbranch_execz .LBB49_176
.LBB49_243:
	v_sub_nc_u32_e32 v31, v49, v3
	v_mov_b32_e32 v32, 0
	v_lshlrev_b64 v[31:32], 2, v[31:32]
	v_add_co_u32 v31, vcc_lo, v2, v31
	v_add_co_ci_u32_e64 v32, null, v4, v32, vcc_lo
	global_store_dword v[31:32], v24, off
	s_or_b32 exec_lo, exec_lo, s18
	s_and_saveexec_b32 s18, s9
	s_cbranch_execz .LBB49_177
.LBB49_244:
	v_sub_nc_u32_e32 v31, v53, v3
	v_mov_b32_e32 v32, 0
	v_lshlrev_b64 v[31:32], 2, v[31:32]
	v_add_co_u32 v31, vcc_lo, v2, v31
	v_add_co_ci_u32_e64 v32, null, v4, v32, vcc_lo
	global_store_dword v[31:32], v21, off
	s_or_b32 exec_lo, exec_lo, s18
	s_and_saveexec_b32 s18, s7
	s_cbranch_execz .LBB49_178
.LBB49_245:
	v_sub_nc_u32_e32 v31, v37, v3
	v_mov_b32_e32 v32, 0
	v_lshlrev_b64 v[31:32], 2, v[31:32]
	v_add_co_u32 v31, vcc_lo, v2, v31
	v_add_co_ci_u32_e64 v32, null, v4, v32, vcc_lo
	global_store_dword v[31:32], v22, off
	s_or_b32 exec_lo, exec_lo, s18
	s_and_saveexec_b32 s18, s5
	s_cbranch_execz .LBB49_179
.LBB49_246:
	v_sub_nc_u32_e32 v31, v41, v3
	v_mov_b32_e32 v32, 0
	v_lshlrev_b64 v[31:32], 2, v[31:32]
	v_add_co_u32 v31, vcc_lo, v2, v31
	v_add_co_ci_u32_e64 v32, null, v4, v32, vcc_lo
	global_store_dword v[31:32], v19, off
	s_or_b32 exec_lo, exec_lo, s18
	s_and_saveexec_b32 s18, s4
	s_cbranch_execz .LBB49_180
.LBB49_247:
	v_sub_nc_u32_e32 v31, v5, v3
	v_mov_b32_e32 v32, 0
	v_lshlrev_b64 v[31:32], 2, v[31:32]
	v_add_co_u32 v31, vcc_lo, v2, v31
	v_add_co_ci_u32_e64 v32, null, v4, v32, vcc_lo
	global_store_dword v[31:32], v20, off
	s_or_b32 exec_lo, exec_lo, s18
	s_and_saveexec_b32 s18, s3
	s_cbranch_execz .LBB49_181
.LBB49_248:
	v_sub_nc_u32_e32 v31, v43, v3
	v_mov_b32_e32 v32, 0
	v_lshlrev_b64 v[31:32], 2, v[31:32]
	v_add_co_u32 v31, vcc_lo, v2, v31
	v_add_co_ci_u32_e64 v32, null, v4, v32, vcc_lo
	global_store_dword v[31:32], v17, off
	s_or_b32 exec_lo, exec_lo, s18
	s_and_saveexec_b32 s18, s2
	s_cbranch_execnz .LBB49_182
	s_branch .LBB49_183
.LBB49_249:
	v_sub_nc_u32_e32 v15, v57, v3
	v_lshlrev_b32_e32 v15, 2, v15
	ds_write_b32 v15, v29
	s_or_b32 exec_lo, exec_lo, s18
	s_and_saveexec_b32 s15, s14
	s_cbranch_execz .LBB49_187
.LBB49_250:
	v_sub_nc_u32_e32 v15, v61, v3
	v_lshlrev_b32_e32 v15, 2, v15
	ds_write_b32 v15, v30
	s_or_b32 exec_lo, exec_lo, s15
	s_and_saveexec_b32 s14, s13
	s_cbranch_execz .LBB49_188
.LBB49_251:
	v_sub_nc_u32_e32 v15, v59, v3
	v_lshlrev_b32_e32 v15, 2, v15
	ds_write_b32 v15, v27
	s_or_b32 exec_lo, exec_lo, s14
	s_and_saveexec_b32 s13, s12
	s_cbranch_execz .LBB49_189
.LBB49_252:
	v_sub_nc_u32_e32 v15, v55, v3
	v_lshlrev_b32_e32 v15, 2, v15
	ds_write_b32 v15, v28
	s_or_b32 exec_lo, exec_lo, s13
	s_and_saveexec_b32 s12, s11
	s_cbranch_execz .LBB49_190
.LBB49_253:
	v_sub_nc_u32_e32 v15, v51, v3
	v_lshlrev_b32_e32 v15, 2, v15
	ds_write_b32 v15, v25
	s_or_b32 exec_lo, exec_lo, s12
	s_and_saveexec_b32 s11, s10
	s_cbranch_execz .LBB49_191
.LBB49_254:
	v_sub_nc_u32_e32 v15, v47, v3
	v_lshlrev_b32_e32 v15, 2, v15
	ds_write_b32 v15, v26
	s_or_b32 exec_lo, exec_lo, s11
	s_and_saveexec_b32 s10, s8
	s_cbranch_execz .LBB49_192
.LBB49_255:
	v_sub_nc_u32_e32 v15, v45, v3
	v_lshlrev_b32_e32 v15, 2, v15
	ds_write_b32 v15, v23
	s_or_b32 exec_lo, exec_lo, s10
	s_and_saveexec_b32 s8, s6
	s_cbranch_execz .LBB49_193
.LBB49_256:
	v_sub_nc_u32_e32 v15, v49, v3
	v_lshlrev_b32_e32 v15, 2, v15
	ds_write_b32 v15, v24
	s_or_b32 exec_lo, exec_lo, s8
	s_and_saveexec_b32 s6, s9
	s_cbranch_execz .LBB49_194
.LBB49_257:
	v_sub_nc_u32_e32 v15, v53, v3
	v_lshlrev_b32_e32 v15, 2, v15
	ds_write_b32 v15, v21
	s_or_b32 exec_lo, exec_lo, s6
	s_and_saveexec_b32 s6, s7
	s_cbranch_execz .LBB49_195
.LBB49_258:
	v_sub_nc_u32_e32 v15, v37, v3
	v_lshlrev_b32_e32 v15, 2, v15
	ds_write_b32 v15, v22
	s_or_b32 exec_lo, exec_lo, s6
	s_and_saveexec_b32 s6, s5
	s_cbranch_execz .LBB49_196
.LBB49_259:
	v_sub_nc_u32_e32 v15, v41, v3
	v_lshlrev_b32_e32 v15, 2, v15
	ds_write_b32 v15, v19
	s_or_b32 exec_lo, exec_lo, s6
	s_and_saveexec_b32 s5, s4
	s_cbranch_execz .LBB49_197
.LBB49_260:
	v_sub_nc_u32_e32 v15, v5, v3
	v_lshlrev_b32_e32 v15, 2, v15
	ds_write_b32 v15, v20
	s_or_b32 exec_lo, exec_lo, s5
	s_and_saveexec_b32 s4, s3
	s_cbranch_execz .LBB49_198
.LBB49_261:
	v_sub_nc_u32_e32 v15, v43, v3
	v_lshlrev_b32_e32 v15, 2, v15
	ds_write_b32 v15, v17
	s_or_b32 exec_lo, exec_lo, s4
	s_and_saveexec_b32 s3, s2
	s_cbranch_execnz .LBB49_199
	s_branch .LBB49_200
.LBB49_262:
	v_sub_nc_u32_e32 v16, v57, v4
	v_mov_b32_e32 v17, 0
	v_lshlrev_b64 v[16:17], 2, v[16:17]
	v_add_co_u32 v16, vcc_lo, v13, v16
	v_add_co_ci_u32_e64 v17, null, v14, v17, vcc_lo
	global_store_dword v[16:17], v58, off
	s_or_b32 exec_lo, exec_lo, s17
	s_and_saveexec_b32 s17, s13
	s_cbranch_execz .LBB49_204
.LBB49_263:
	v_sub_nc_u32_e32 v16, v61, v4
	v_mov_b32_e32 v17, 0
	v_lshlrev_b64 v[16:17], 2, v[16:17]
	v_add_co_u32 v16, vcc_lo, v13, v16
	v_add_co_ci_u32_e64 v17, null, v14, v17, vcc_lo
	global_store_dword v[16:17], v62, off
	s_or_b32 exec_lo, exec_lo, s17
	s_and_saveexec_b32 s17, s12
	s_cbranch_execz .LBB49_205
.LBB49_264:
	v_sub_nc_u32_e32 v16, v59, v4
	v_mov_b32_e32 v17, 0
	v_lshlrev_b64 v[16:17], 2, v[16:17]
	v_add_co_u32 v16, vcc_lo, v13, v16
	v_add_co_ci_u32_e64 v17, null, v14, v17, vcc_lo
	global_store_dword v[16:17], v60, off
	s_or_b32 exec_lo, exec_lo, s17
	s_and_saveexec_b32 s17, s11
	s_cbranch_execz .LBB49_206
.LBB49_265:
	v_sub_nc_u32_e32 v16, v55, v4
	v_mov_b32_e32 v17, 0
	v_lshlrev_b64 v[16:17], 2, v[16:17]
	v_add_co_u32 v16, vcc_lo, v13, v16
	v_add_co_ci_u32_e64 v17, null, v14, v17, vcc_lo
	global_store_dword v[16:17], v56, off
	s_or_b32 exec_lo, exec_lo, s17
	s_and_saveexec_b32 s17, s10
	s_cbranch_execz .LBB49_207
.LBB49_266:
	v_sub_nc_u32_e32 v16, v51, v4
	v_mov_b32_e32 v17, 0
	v_lshlrev_b64 v[16:17], 2, v[16:17]
	v_add_co_u32 v16, vcc_lo, v13, v16
	v_add_co_ci_u32_e64 v17, null, v14, v17, vcc_lo
	global_store_dword v[16:17], v52, off
	s_or_b32 exec_lo, exec_lo, s17
	s_and_saveexec_b32 s17, s9
	s_cbranch_execz .LBB49_208
.LBB49_267:
	v_sub_nc_u32_e32 v16, v47, v4
	v_mov_b32_e32 v17, 0
	v_lshlrev_b64 v[16:17], 2, v[16:17]
	v_add_co_u32 v16, vcc_lo, v13, v16
	v_add_co_ci_u32_e64 v17, null, v14, v17, vcc_lo
	global_store_dword v[16:17], v48, off
	s_or_b32 exec_lo, exec_lo, s17
	s_and_saveexec_b32 s17, s8
	s_cbranch_execz .LBB49_209
.LBB49_268:
	v_sub_nc_u32_e32 v16, v45, v4
	v_mov_b32_e32 v17, 0
	v_lshlrev_b64 v[16:17], 2, v[16:17]
	v_add_co_u32 v16, vcc_lo, v13, v16
	v_add_co_ci_u32_e64 v17, null, v14, v17, vcc_lo
	global_store_dword v[16:17], v46, off
	s_or_b32 exec_lo, exec_lo, s17
	s_and_saveexec_b32 s17, s7
	s_cbranch_execz .LBB49_210
.LBB49_269:
	v_sub_nc_u32_e32 v16, v49, v4
	v_mov_b32_e32 v17, 0
	v_lshlrev_b64 v[16:17], 2, v[16:17]
	v_add_co_u32 v16, vcc_lo, v13, v16
	v_add_co_ci_u32_e64 v17, null, v14, v17, vcc_lo
	global_store_dword v[16:17], v50, off
	s_or_b32 exec_lo, exec_lo, s17
	s_and_saveexec_b32 s17, s6
	s_cbranch_execz .LBB49_211
.LBB49_270:
	v_sub_nc_u32_e32 v16, v53, v4
	v_mov_b32_e32 v17, 0
	v_lshlrev_b64 v[16:17], 2, v[16:17]
	v_add_co_u32 v16, vcc_lo, v13, v16
	v_add_co_ci_u32_e64 v17, null, v14, v17, vcc_lo
	global_store_dword v[16:17], v54, off
	s_or_b32 exec_lo, exec_lo, s17
	s_and_saveexec_b32 s17, s5
	s_cbranch_execz .LBB49_212
.LBB49_271:
	v_sub_nc_u32_e32 v16, v37, v4
	v_mov_b32_e32 v17, 0
	v_lshlrev_b64 v[16:17], 2, v[16:17]
	v_add_co_u32 v16, vcc_lo, v13, v16
	v_add_co_ci_u32_e64 v17, null, v14, v17, vcc_lo
	global_store_dword v[16:17], v38, off
	s_or_b32 exec_lo, exec_lo, s17
	s_and_saveexec_b32 s17, s4
	s_cbranch_execz .LBB49_213
.LBB49_272:
	v_sub_nc_u32_e32 v16, v41, v4
	v_mov_b32_e32 v17, 0
	v_lshlrev_b64 v[16:17], 2, v[16:17]
	v_add_co_u32 v16, vcc_lo, v13, v16
	v_add_co_ci_u32_e64 v17, null, v14, v17, vcc_lo
	global_store_dword v[16:17], v42, off
	s_or_b32 exec_lo, exec_lo, s17
	s_and_saveexec_b32 s17, s3
	s_cbranch_execz .LBB49_214
.LBB49_273:
	v_sub_nc_u32_e32 v16, v5, v4
	v_mov_b32_e32 v17, 0
	v_lshlrev_b64 v[16:17], 2, v[16:17]
	v_add_co_u32 v16, vcc_lo, v13, v16
	v_add_co_ci_u32_e64 v17, null, v14, v17, vcc_lo
	global_store_dword v[16:17], v6, off
	s_or_b32 exec_lo, exec_lo, s17
	s_and_saveexec_b32 s17, s2
	s_cbranch_execz .LBB49_215
.LBB49_274:
	v_sub_nc_u32_e32 v16, v43, v4
	v_mov_b32_e32 v17, 0
	v_lshlrev_b64 v[16:17], 2, v[16:17]
	v_add_co_u32 v16, vcc_lo, v13, v16
	v_add_co_ci_u32_e64 v17, null, v14, v17, vcc_lo
	global_store_dword v[16:17], v44, off
	s_or_b32 exec_lo, exec_lo, s17
	s_and_saveexec_b32 s17, s1
	s_cbranch_execnz .LBB49_216
	s_branch .LBB49_217
.LBB49_275:
	v_sub_nc_u32_e32 v15, v57, v4
	v_lshlrev_b32_e32 v15, 2, v15
	ds_write_b32 v15, v58
	s_or_b32 exec_lo, exec_lo, s17
	s_and_saveexec_b32 s14, s13
	s_cbranch_execz .LBB49_221
.LBB49_276:
	v_sub_nc_u32_e32 v15, v61, v4
	v_lshlrev_b32_e32 v15, 2, v15
	ds_write_b32 v15, v62
	s_or_b32 exec_lo, exec_lo, s14
	s_and_saveexec_b32 s13, s12
	s_cbranch_execz .LBB49_222
.LBB49_277:
	v_sub_nc_u32_e32 v15, v59, v4
	v_lshlrev_b32_e32 v15, 2, v15
	ds_write_b32 v15, v60
	s_or_b32 exec_lo, exec_lo, s13
	s_and_saveexec_b32 s12, s11
	s_cbranch_execz .LBB49_223
.LBB49_278:
	v_sub_nc_u32_e32 v15, v55, v4
	v_lshlrev_b32_e32 v15, 2, v15
	ds_write_b32 v15, v56
	s_or_b32 exec_lo, exec_lo, s12
	s_and_saveexec_b32 s11, s10
	s_cbranch_execz .LBB49_224
.LBB49_279:
	v_sub_nc_u32_e32 v15, v51, v4
	v_lshlrev_b32_e32 v15, 2, v15
	ds_write_b32 v15, v52
	s_or_b32 exec_lo, exec_lo, s11
	s_and_saveexec_b32 s10, s9
	s_cbranch_execz .LBB49_225
.LBB49_280:
	v_sub_nc_u32_e32 v15, v47, v4
	v_lshlrev_b32_e32 v15, 2, v15
	ds_write_b32 v15, v48
	s_or_b32 exec_lo, exec_lo, s10
	s_and_saveexec_b32 s9, s8
	s_cbranch_execz .LBB49_226
.LBB49_281:
	v_sub_nc_u32_e32 v15, v45, v4
	v_lshlrev_b32_e32 v15, 2, v15
	ds_write_b32 v15, v46
	s_or_b32 exec_lo, exec_lo, s9
	s_and_saveexec_b32 s8, s7
	s_cbranch_execz .LBB49_227
.LBB49_282:
	v_sub_nc_u32_e32 v15, v49, v4
	v_lshlrev_b32_e32 v15, 2, v15
	ds_write_b32 v15, v50
	s_or_b32 exec_lo, exec_lo, s8
	s_and_saveexec_b32 s7, s6
	s_cbranch_execz .LBB49_228
.LBB49_283:
	v_sub_nc_u32_e32 v15, v53, v4
	v_lshlrev_b32_e32 v15, 2, v15
	ds_write_b32 v15, v54
	s_or_b32 exec_lo, exec_lo, s7
	s_and_saveexec_b32 s6, s5
	s_cbranch_execz .LBB49_229
.LBB49_284:
	v_sub_nc_u32_e32 v15, v37, v4
	v_lshlrev_b32_e32 v15, 2, v15
	ds_write_b32 v15, v38
	s_or_b32 exec_lo, exec_lo, s6
	s_and_saveexec_b32 s5, s4
	s_cbranch_execz .LBB49_230
.LBB49_285:
	v_sub_nc_u32_e32 v15, v41, v4
	v_lshlrev_b32_e32 v15, 2, v15
	ds_write_b32 v15, v42
	s_or_b32 exec_lo, exec_lo, s5
	s_and_saveexec_b32 s4, s3
	s_cbranch_execz .LBB49_231
.LBB49_286:
	v_sub_nc_u32_e32 v5, v5, v4
	v_lshlrev_b32_e32 v5, 2, v5
	ds_write_b32 v5, v6
	s_or_b32 exec_lo, exec_lo, s4
	s_and_saveexec_b32 s3, s2
	s_cbranch_execz .LBB49_232
.LBB49_287:
	v_sub_nc_u32_e32 v5, v43, v4
	v_lshlrev_b32_e32 v5, 2, v5
	ds_write_b32 v5, v44
	s_or_b32 exec_lo, exec_lo, s3
	s_and_saveexec_b32 s2, s1
	s_cbranch_execnz .LBB49_233
	s_branch .LBB49_234
	.section	.rodata,"a",@progbits
	.p2align	6, 0x0
	.amdhsa_kernel _ZN7rocprim17ROCPRIM_400000_NS6detail17trampoline_kernelINS0_14default_configENS1_29reduce_by_key_config_selectorIiiN6thrust23THRUST_200600_302600_NS4plusIiEEEEZZNS1_33reduce_by_key_impl_wrapped_configILNS1_25lookback_scan_determinismE0ES3_S9_NS6_18transform_iteratorI25linear_index_to_row_indexIiENS6_17counting_iteratorIiNS6_11use_defaultESG_SG_EESG_SG_EENS6_6detail15normal_iteratorINS6_10device_ptrIiEEEESN_SN_PmS8_NS6_8equal_toIiEEEE10hipError_tPvRmT2_T3_mT4_T5_T6_T7_T8_P12ihipStream_tbENKUlT_T0_E_clISt17integral_constantIbLb0EES17_IbLb1EEEEDaS13_S14_EUlS13_E_NS1_11comp_targetILNS1_3genE8ELNS1_11target_archE1030ELNS1_3gpuE2ELNS1_3repE0EEENS1_30default_config_static_selectorELNS0_4arch9wavefront6targetE0EEEvT1_
		.amdhsa_group_segment_fixed_size 15360
		.amdhsa_private_segment_fixed_size 0
		.amdhsa_kernarg_size 120
		.amdhsa_user_sgpr_count 6
		.amdhsa_user_sgpr_private_segment_buffer 1
		.amdhsa_user_sgpr_dispatch_ptr 0
		.amdhsa_user_sgpr_queue_ptr 0
		.amdhsa_user_sgpr_kernarg_segment_ptr 1
		.amdhsa_user_sgpr_dispatch_id 0
		.amdhsa_user_sgpr_flat_scratch_init 0
		.amdhsa_user_sgpr_private_segment_size 0
		.amdhsa_wavefront_size32 1
		.amdhsa_uses_dynamic_stack 0
		.amdhsa_system_sgpr_private_segment_wavefront_offset 0
		.amdhsa_system_sgpr_workgroup_id_x 1
		.amdhsa_system_sgpr_workgroup_id_y 0
		.amdhsa_system_sgpr_workgroup_id_z 0
		.amdhsa_system_sgpr_workgroup_info 0
		.amdhsa_system_vgpr_workitem_id 0
		.amdhsa_next_free_vgpr 87
		.amdhsa_next_free_sgpr 51
		.amdhsa_reserve_vcc 1
		.amdhsa_reserve_flat_scratch 1
		.amdhsa_float_round_mode_32 0
		.amdhsa_float_round_mode_16_64 0
		.amdhsa_float_denorm_mode_32 3
		.amdhsa_float_denorm_mode_16_64 3
		.amdhsa_dx10_clamp 1
		.amdhsa_ieee_mode 1
		.amdhsa_fp16_overflow 0
		.amdhsa_workgroup_processor_mode 1
		.amdhsa_memory_ordered 1
		.amdhsa_forward_progress 1
		.amdhsa_shared_vgpr_count 0
		.amdhsa_exception_fp_ieee_invalid_op 0
		.amdhsa_exception_fp_denorm_src 0
		.amdhsa_exception_fp_ieee_div_zero 0
		.amdhsa_exception_fp_ieee_overflow 0
		.amdhsa_exception_fp_ieee_underflow 0
		.amdhsa_exception_fp_ieee_inexact 0
		.amdhsa_exception_int_div_zero 0
	.end_amdhsa_kernel
	.section	.text._ZN7rocprim17ROCPRIM_400000_NS6detail17trampoline_kernelINS0_14default_configENS1_29reduce_by_key_config_selectorIiiN6thrust23THRUST_200600_302600_NS4plusIiEEEEZZNS1_33reduce_by_key_impl_wrapped_configILNS1_25lookback_scan_determinismE0ES3_S9_NS6_18transform_iteratorI25linear_index_to_row_indexIiENS6_17counting_iteratorIiNS6_11use_defaultESG_SG_EESG_SG_EENS6_6detail15normal_iteratorINS6_10device_ptrIiEEEESN_SN_PmS8_NS6_8equal_toIiEEEE10hipError_tPvRmT2_T3_mT4_T5_T6_T7_T8_P12ihipStream_tbENKUlT_T0_E_clISt17integral_constantIbLb0EES17_IbLb1EEEEDaS13_S14_EUlS13_E_NS1_11comp_targetILNS1_3genE8ELNS1_11target_archE1030ELNS1_3gpuE2ELNS1_3repE0EEENS1_30default_config_static_selectorELNS0_4arch9wavefront6targetE0EEEvT1_,"axG",@progbits,_ZN7rocprim17ROCPRIM_400000_NS6detail17trampoline_kernelINS0_14default_configENS1_29reduce_by_key_config_selectorIiiN6thrust23THRUST_200600_302600_NS4plusIiEEEEZZNS1_33reduce_by_key_impl_wrapped_configILNS1_25lookback_scan_determinismE0ES3_S9_NS6_18transform_iteratorI25linear_index_to_row_indexIiENS6_17counting_iteratorIiNS6_11use_defaultESG_SG_EESG_SG_EENS6_6detail15normal_iteratorINS6_10device_ptrIiEEEESN_SN_PmS8_NS6_8equal_toIiEEEE10hipError_tPvRmT2_T3_mT4_T5_T6_T7_T8_P12ihipStream_tbENKUlT_T0_E_clISt17integral_constantIbLb0EES17_IbLb1EEEEDaS13_S14_EUlS13_E_NS1_11comp_targetILNS1_3genE8ELNS1_11target_archE1030ELNS1_3gpuE2ELNS1_3repE0EEENS1_30default_config_static_selectorELNS0_4arch9wavefront6targetE0EEEvT1_,comdat
.Lfunc_end49:
	.size	_ZN7rocprim17ROCPRIM_400000_NS6detail17trampoline_kernelINS0_14default_configENS1_29reduce_by_key_config_selectorIiiN6thrust23THRUST_200600_302600_NS4plusIiEEEEZZNS1_33reduce_by_key_impl_wrapped_configILNS1_25lookback_scan_determinismE0ES3_S9_NS6_18transform_iteratorI25linear_index_to_row_indexIiENS6_17counting_iteratorIiNS6_11use_defaultESG_SG_EESG_SG_EENS6_6detail15normal_iteratorINS6_10device_ptrIiEEEESN_SN_PmS8_NS6_8equal_toIiEEEE10hipError_tPvRmT2_T3_mT4_T5_T6_T7_T8_P12ihipStream_tbENKUlT_T0_E_clISt17integral_constantIbLb0EES17_IbLb1EEEEDaS13_S14_EUlS13_E_NS1_11comp_targetILNS1_3genE8ELNS1_11target_archE1030ELNS1_3gpuE2ELNS1_3repE0EEENS1_30default_config_static_selectorELNS0_4arch9wavefront6targetE0EEEvT1_, .Lfunc_end49-_ZN7rocprim17ROCPRIM_400000_NS6detail17trampoline_kernelINS0_14default_configENS1_29reduce_by_key_config_selectorIiiN6thrust23THRUST_200600_302600_NS4plusIiEEEEZZNS1_33reduce_by_key_impl_wrapped_configILNS1_25lookback_scan_determinismE0ES3_S9_NS6_18transform_iteratorI25linear_index_to_row_indexIiENS6_17counting_iteratorIiNS6_11use_defaultESG_SG_EESG_SG_EENS6_6detail15normal_iteratorINS6_10device_ptrIiEEEESN_SN_PmS8_NS6_8equal_toIiEEEE10hipError_tPvRmT2_T3_mT4_T5_T6_T7_T8_P12ihipStream_tbENKUlT_T0_E_clISt17integral_constantIbLb0EES17_IbLb1EEEEDaS13_S14_EUlS13_E_NS1_11comp_targetILNS1_3genE8ELNS1_11target_archE1030ELNS1_3gpuE2ELNS1_3repE0EEENS1_30default_config_static_selectorELNS0_4arch9wavefront6targetE0EEEvT1_
                                        ; -- End function
	.set _ZN7rocprim17ROCPRIM_400000_NS6detail17trampoline_kernelINS0_14default_configENS1_29reduce_by_key_config_selectorIiiN6thrust23THRUST_200600_302600_NS4plusIiEEEEZZNS1_33reduce_by_key_impl_wrapped_configILNS1_25lookback_scan_determinismE0ES3_S9_NS6_18transform_iteratorI25linear_index_to_row_indexIiENS6_17counting_iteratorIiNS6_11use_defaultESG_SG_EESG_SG_EENS6_6detail15normal_iteratorINS6_10device_ptrIiEEEESN_SN_PmS8_NS6_8equal_toIiEEEE10hipError_tPvRmT2_T3_mT4_T5_T6_T7_T8_P12ihipStream_tbENKUlT_T0_E_clISt17integral_constantIbLb0EES17_IbLb1EEEEDaS13_S14_EUlS13_E_NS1_11comp_targetILNS1_3genE8ELNS1_11target_archE1030ELNS1_3gpuE2ELNS1_3repE0EEENS1_30default_config_static_selectorELNS0_4arch9wavefront6targetE0EEEvT1_.num_vgpr, 87
	.set _ZN7rocprim17ROCPRIM_400000_NS6detail17trampoline_kernelINS0_14default_configENS1_29reduce_by_key_config_selectorIiiN6thrust23THRUST_200600_302600_NS4plusIiEEEEZZNS1_33reduce_by_key_impl_wrapped_configILNS1_25lookback_scan_determinismE0ES3_S9_NS6_18transform_iteratorI25linear_index_to_row_indexIiENS6_17counting_iteratorIiNS6_11use_defaultESG_SG_EESG_SG_EENS6_6detail15normal_iteratorINS6_10device_ptrIiEEEESN_SN_PmS8_NS6_8equal_toIiEEEE10hipError_tPvRmT2_T3_mT4_T5_T6_T7_T8_P12ihipStream_tbENKUlT_T0_E_clISt17integral_constantIbLb0EES17_IbLb1EEEEDaS13_S14_EUlS13_E_NS1_11comp_targetILNS1_3genE8ELNS1_11target_archE1030ELNS1_3gpuE2ELNS1_3repE0EEENS1_30default_config_static_selectorELNS0_4arch9wavefront6targetE0EEEvT1_.num_agpr, 0
	.set _ZN7rocprim17ROCPRIM_400000_NS6detail17trampoline_kernelINS0_14default_configENS1_29reduce_by_key_config_selectorIiiN6thrust23THRUST_200600_302600_NS4plusIiEEEEZZNS1_33reduce_by_key_impl_wrapped_configILNS1_25lookback_scan_determinismE0ES3_S9_NS6_18transform_iteratorI25linear_index_to_row_indexIiENS6_17counting_iteratorIiNS6_11use_defaultESG_SG_EESG_SG_EENS6_6detail15normal_iteratorINS6_10device_ptrIiEEEESN_SN_PmS8_NS6_8equal_toIiEEEE10hipError_tPvRmT2_T3_mT4_T5_T6_T7_T8_P12ihipStream_tbENKUlT_T0_E_clISt17integral_constantIbLb0EES17_IbLb1EEEEDaS13_S14_EUlS13_E_NS1_11comp_targetILNS1_3genE8ELNS1_11target_archE1030ELNS1_3gpuE2ELNS1_3repE0EEENS1_30default_config_static_selectorELNS0_4arch9wavefront6targetE0EEEvT1_.numbered_sgpr, 51
	.set _ZN7rocprim17ROCPRIM_400000_NS6detail17trampoline_kernelINS0_14default_configENS1_29reduce_by_key_config_selectorIiiN6thrust23THRUST_200600_302600_NS4plusIiEEEEZZNS1_33reduce_by_key_impl_wrapped_configILNS1_25lookback_scan_determinismE0ES3_S9_NS6_18transform_iteratorI25linear_index_to_row_indexIiENS6_17counting_iteratorIiNS6_11use_defaultESG_SG_EESG_SG_EENS6_6detail15normal_iteratorINS6_10device_ptrIiEEEESN_SN_PmS8_NS6_8equal_toIiEEEE10hipError_tPvRmT2_T3_mT4_T5_T6_T7_T8_P12ihipStream_tbENKUlT_T0_E_clISt17integral_constantIbLb0EES17_IbLb1EEEEDaS13_S14_EUlS13_E_NS1_11comp_targetILNS1_3genE8ELNS1_11target_archE1030ELNS1_3gpuE2ELNS1_3repE0EEENS1_30default_config_static_selectorELNS0_4arch9wavefront6targetE0EEEvT1_.num_named_barrier, 0
	.set _ZN7rocprim17ROCPRIM_400000_NS6detail17trampoline_kernelINS0_14default_configENS1_29reduce_by_key_config_selectorIiiN6thrust23THRUST_200600_302600_NS4plusIiEEEEZZNS1_33reduce_by_key_impl_wrapped_configILNS1_25lookback_scan_determinismE0ES3_S9_NS6_18transform_iteratorI25linear_index_to_row_indexIiENS6_17counting_iteratorIiNS6_11use_defaultESG_SG_EESG_SG_EENS6_6detail15normal_iteratorINS6_10device_ptrIiEEEESN_SN_PmS8_NS6_8equal_toIiEEEE10hipError_tPvRmT2_T3_mT4_T5_T6_T7_T8_P12ihipStream_tbENKUlT_T0_E_clISt17integral_constantIbLb0EES17_IbLb1EEEEDaS13_S14_EUlS13_E_NS1_11comp_targetILNS1_3genE8ELNS1_11target_archE1030ELNS1_3gpuE2ELNS1_3repE0EEENS1_30default_config_static_selectorELNS0_4arch9wavefront6targetE0EEEvT1_.private_seg_size, 0
	.set _ZN7rocprim17ROCPRIM_400000_NS6detail17trampoline_kernelINS0_14default_configENS1_29reduce_by_key_config_selectorIiiN6thrust23THRUST_200600_302600_NS4plusIiEEEEZZNS1_33reduce_by_key_impl_wrapped_configILNS1_25lookback_scan_determinismE0ES3_S9_NS6_18transform_iteratorI25linear_index_to_row_indexIiENS6_17counting_iteratorIiNS6_11use_defaultESG_SG_EESG_SG_EENS6_6detail15normal_iteratorINS6_10device_ptrIiEEEESN_SN_PmS8_NS6_8equal_toIiEEEE10hipError_tPvRmT2_T3_mT4_T5_T6_T7_T8_P12ihipStream_tbENKUlT_T0_E_clISt17integral_constantIbLb0EES17_IbLb1EEEEDaS13_S14_EUlS13_E_NS1_11comp_targetILNS1_3genE8ELNS1_11target_archE1030ELNS1_3gpuE2ELNS1_3repE0EEENS1_30default_config_static_selectorELNS0_4arch9wavefront6targetE0EEEvT1_.uses_vcc, 1
	.set _ZN7rocprim17ROCPRIM_400000_NS6detail17trampoline_kernelINS0_14default_configENS1_29reduce_by_key_config_selectorIiiN6thrust23THRUST_200600_302600_NS4plusIiEEEEZZNS1_33reduce_by_key_impl_wrapped_configILNS1_25lookback_scan_determinismE0ES3_S9_NS6_18transform_iteratorI25linear_index_to_row_indexIiENS6_17counting_iteratorIiNS6_11use_defaultESG_SG_EESG_SG_EENS6_6detail15normal_iteratorINS6_10device_ptrIiEEEESN_SN_PmS8_NS6_8equal_toIiEEEE10hipError_tPvRmT2_T3_mT4_T5_T6_T7_T8_P12ihipStream_tbENKUlT_T0_E_clISt17integral_constantIbLb0EES17_IbLb1EEEEDaS13_S14_EUlS13_E_NS1_11comp_targetILNS1_3genE8ELNS1_11target_archE1030ELNS1_3gpuE2ELNS1_3repE0EEENS1_30default_config_static_selectorELNS0_4arch9wavefront6targetE0EEEvT1_.uses_flat_scratch, 1
	.set _ZN7rocprim17ROCPRIM_400000_NS6detail17trampoline_kernelINS0_14default_configENS1_29reduce_by_key_config_selectorIiiN6thrust23THRUST_200600_302600_NS4plusIiEEEEZZNS1_33reduce_by_key_impl_wrapped_configILNS1_25lookback_scan_determinismE0ES3_S9_NS6_18transform_iteratorI25linear_index_to_row_indexIiENS6_17counting_iteratorIiNS6_11use_defaultESG_SG_EESG_SG_EENS6_6detail15normal_iteratorINS6_10device_ptrIiEEEESN_SN_PmS8_NS6_8equal_toIiEEEE10hipError_tPvRmT2_T3_mT4_T5_T6_T7_T8_P12ihipStream_tbENKUlT_T0_E_clISt17integral_constantIbLb0EES17_IbLb1EEEEDaS13_S14_EUlS13_E_NS1_11comp_targetILNS1_3genE8ELNS1_11target_archE1030ELNS1_3gpuE2ELNS1_3repE0EEENS1_30default_config_static_selectorELNS0_4arch9wavefront6targetE0EEEvT1_.has_dyn_sized_stack, 0
	.set _ZN7rocprim17ROCPRIM_400000_NS6detail17trampoline_kernelINS0_14default_configENS1_29reduce_by_key_config_selectorIiiN6thrust23THRUST_200600_302600_NS4plusIiEEEEZZNS1_33reduce_by_key_impl_wrapped_configILNS1_25lookback_scan_determinismE0ES3_S9_NS6_18transform_iteratorI25linear_index_to_row_indexIiENS6_17counting_iteratorIiNS6_11use_defaultESG_SG_EESG_SG_EENS6_6detail15normal_iteratorINS6_10device_ptrIiEEEESN_SN_PmS8_NS6_8equal_toIiEEEE10hipError_tPvRmT2_T3_mT4_T5_T6_T7_T8_P12ihipStream_tbENKUlT_T0_E_clISt17integral_constantIbLb0EES17_IbLb1EEEEDaS13_S14_EUlS13_E_NS1_11comp_targetILNS1_3genE8ELNS1_11target_archE1030ELNS1_3gpuE2ELNS1_3repE0EEENS1_30default_config_static_selectorELNS0_4arch9wavefront6targetE0EEEvT1_.has_recursion, 0
	.set _ZN7rocprim17ROCPRIM_400000_NS6detail17trampoline_kernelINS0_14default_configENS1_29reduce_by_key_config_selectorIiiN6thrust23THRUST_200600_302600_NS4plusIiEEEEZZNS1_33reduce_by_key_impl_wrapped_configILNS1_25lookback_scan_determinismE0ES3_S9_NS6_18transform_iteratorI25linear_index_to_row_indexIiENS6_17counting_iteratorIiNS6_11use_defaultESG_SG_EESG_SG_EENS6_6detail15normal_iteratorINS6_10device_ptrIiEEEESN_SN_PmS8_NS6_8equal_toIiEEEE10hipError_tPvRmT2_T3_mT4_T5_T6_T7_T8_P12ihipStream_tbENKUlT_T0_E_clISt17integral_constantIbLb0EES17_IbLb1EEEEDaS13_S14_EUlS13_E_NS1_11comp_targetILNS1_3genE8ELNS1_11target_archE1030ELNS1_3gpuE2ELNS1_3repE0EEENS1_30default_config_static_selectorELNS0_4arch9wavefront6targetE0EEEvT1_.has_indirect_call, 0
	.section	.AMDGPU.csdata,"",@progbits
; Kernel info:
; codeLenInByte = 19308
; TotalNumSgprs: 53
; NumVgprs: 87
; ScratchSize: 0
; MemoryBound: 0
; FloatMode: 240
; IeeeMode: 1
; LDSByteSize: 15360 bytes/workgroup (compile time only)
; SGPRBlocks: 0
; VGPRBlocks: 10
; NumSGPRsForWavesPerEU: 53
; NumVGPRsForWavesPerEU: 87
; Occupancy: 10
; WaveLimiterHint : 1
; COMPUTE_PGM_RSRC2:SCRATCH_EN: 0
; COMPUTE_PGM_RSRC2:USER_SGPR: 6
; COMPUTE_PGM_RSRC2:TRAP_HANDLER: 0
; COMPUTE_PGM_RSRC2:TGID_X_EN: 1
; COMPUTE_PGM_RSRC2:TGID_Y_EN: 0
; COMPUTE_PGM_RSRC2:TGID_Z_EN: 0
; COMPUTE_PGM_RSRC2:TIDIG_COMP_CNT: 0
	.section	.AMDGPU.gpr_maximums,"",@progbits
	.set amdgpu.max_num_vgpr, 0
	.set amdgpu.max_num_agpr, 0
	.set amdgpu.max_num_sgpr, 0
	.section	.AMDGPU.csdata,"",@progbits
	.type	__hip_cuid_b02b418e94c3cc7c,@object ; @__hip_cuid_b02b418e94c3cc7c
	.section	.bss,"aw",@nobits
	.globl	__hip_cuid_b02b418e94c3cc7c
__hip_cuid_b02b418e94c3cc7c:
	.byte	0                               ; 0x0
	.size	__hip_cuid_b02b418e94c3cc7c, 1

	.ident	"AMD clang version 22.0.0git (https://github.com/RadeonOpenCompute/llvm-project roc-7.2.4 26084 f58b06dce1f9c15707c5f808fd002e18c2accf7e)"
	.section	".note.GNU-stack","",@progbits
	.addrsig
	.addrsig_sym __hip_cuid_b02b418e94c3cc7c
	.amdgpu_metadata
---
amdhsa.kernels:
  - .args:
      - .offset:         0
        .size:           16
        .value_kind:     by_value
      - .offset:         16
        .size:           8
        .value_kind:     by_value
      - .offset:         24
        .size:           8
        .value_kind:     by_value
    .group_segment_fixed_size: 0
    .kernarg_segment_align: 8
    .kernarg_segment_size: 32
    .language:       OpenCL C
    .language_version:
      - 2
      - 0
    .max_flat_workgroup_size: 256
    .name:           _ZN6thrust23THRUST_200600_302600_NS11hip_rocprim14__parallel_for6kernelILj256ENS1_20__uninitialized_fill7functorINS0_10device_ptrIiEEiEEmLj1EEEvT0_T1_SA_
    .private_segment_fixed_size: 0
    .sgpr_count:     14
    .sgpr_spill_count: 0
    .symbol:         _ZN6thrust23THRUST_200600_302600_NS11hip_rocprim14__parallel_for6kernelILj256ENS1_20__uninitialized_fill7functorINS0_10device_ptrIiEEiEEmLj1EEEvT0_T1_SA_.kd
    .uniform_work_group_size: 1
    .uses_dynamic_stack: false
    .vgpr_count:     4
    .vgpr_spill_count: 0
    .wavefront_size: 32
    .workgroup_processor_mode: 1
  - .args:
      - .offset:         0
        .size:           48
        .value_kind:     by_value
    .group_segment_fixed_size: 0
    .kernarg_segment_align: 8
    .kernarg_segment_size: 48
    .language:       OpenCL C
    .language_version:
      - 2
      - 0
    .max_flat_workgroup_size: 128
    .name:           _ZN7rocprim17ROCPRIM_400000_NS6detail17trampoline_kernelINS0_14default_configENS1_25transform_config_selectorImLb0EEEZNS1_14transform_implILb0ES3_S5_NS0_17constant_iteratorImlEEPmNS0_8identityImEEEE10hipError_tT2_T3_mT4_P12ihipStream_tbEUlT_E_NS1_11comp_targetILNS1_3genE0ELNS1_11target_archE4294967295ELNS1_3gpuE0ELNS1_3repE0EEENS1_30default_config_static_selectorELNS0_4arch9wavefront6targetE0EEEvT1_
    .private_segment_fixed_size: 0
    .sgpr_count:     0
    .sgpr_spill_count: 0
    .symbol:         _ZN7rocprim17ROCPRIM_400000_NS6detail17trampoline_kernelINS0_14default_configENS1_25transform_config_selectorImLb0EEEZNS1_14transform_implILb0ES3_S5_NS0_17constant_iteratorImlEEPmNS0_8identityImEEEE10hipError_tT2_T3_mT4_P12ihipStream_tbEUlT_E_NS1_11comp_targetILNS1_3genE0ELNS1_11target_archE4294967295ELNS1_3gpuE0ELNS1_3repE0EEENS1_30default_config_static_selectorELNS0_4arch9wavefront6targetE0EEEvT1_.kd
    .uniform_work_group_size: 1
    .uses_dynamic_stack: false
    .vgpr_count:     0
    .vgpr_spill_count: 0
    .wavefront_size: 32
    .workgroup_processor_mode: 1
  - .args:
      - .offset:         0
        .size:           48
        .value_kind:     by_value
    .group_segment_fixed_size: 0
    .kernarg_segment_align: 8
    .kernarg_segment_size: 48
    .language:       OpenCL C
    .language_version:
      - 2
      - 0
    .max_flat_workgroup_size: 512
    .name:           _ZN7rocprim17ROCPRIM_400000_NS6detail17trampoline_kernelINS0_14default_configENS1_25transform_config_selectorImLb0EEEZNS1_14transform_implILb0ES3_S5_NS0_17constant_iteratorImlEEPmNS0_8identityImEEEE10hipError_tT2_T3_mT4_P12ihipStream_tbEUlT_E_NS1_11comp_targetILNS1_3genE5ELNS1_11target_archE942ELNS1_3gpuE9ELNS1_3repE0EEENS1_30default_config_static_selectorELNS0_4arch9wavefront6targetE0EEEvT1_
    .private_segment_fixed_size: 0
    .sgpr_count:     0
    .sgpr_spill_count: 0
    .symbol:         _ZN7rocprim17ROCPRIM_400000_NS6detail17trampoline_kernelINS0_14default_configENS1_25transform_config_selectorImLb0EEEZNS1_14transform_implILb0ES3_S5_NS0_17constant_iteratorImlEEPmNS0_8identityImEEEE10hipError_tT2_T3_mT4_P12ihipStream_tbEUlT_E_NS1_11comp_targetILNS1_3genE5ELNS1_11target_archE942ELNS1_3gpuE9ELNS1_3repE0EEENS1_30default_config_static_selectorELNS0_4arch9wavefront6targetE0EEEvT1_.kd
    .uniform_work_group_size: 1
    .uses_dynamic_stack: false
    .vgpr_count:     0
    .vgpr_spill_count: 0
    .wavefront_size: 32
    .workgroup_processor_mode: 1
  - .args:
      - .offset:         0
        .size:           48
        .value_kind:     by_value
    .group_segment_fixed_size: 0
    .kernarg_segment_align: 8
    .kernarg_segment_size: 48
    .language:       OpenCL C
    .language_version:
      - 2
      - 0
    .max_flat_workgroup_size: 256
    .name:           _ZN7rocprim17ROCPRIM_400000_NS6detail17trampoline_kernelINS0_14default_configENS1_25transform_config_selectorImLb0EEEZNS1_14transform_implILb0ES3_S5_NS0_17constant_iteratorImlEEPmNS0_8identityImEEEE10hipError_tT2_T3_mT4_P12ihipStream_tbEUlT_E_NS1_11comp_targetILNS1_3genE4ELNS1_11target_archE910ELNS1_3gpuE8ELNS1_3repE0EEENS1_30default_config_static_selectorELNS0_4arch9wavefront6targetE0EEEvT1_
    .private_segment_fixed_size: 0
    .sgpr_count:     0
    .sgpr_spill_count: 0
    .symbol:         _ZN7rocprim17ROCPRIM_400000_NS6detail17trampoline_kernelINS0_14default_configENS1_25transform_config_selectorImLb0EEEZNS1_14transform_implILb0ES3_S5_NS0_17constant_iteratorImlEEPmNS0_8identityImEEEE10hipError_tT2_T3_mT4_P12ihipStream_tbEUlT_E_NS1_11comp_targetILNS1_3genE4ELNS1_11target_archE910ELNS1_3gpuE8ELNS1_3repE0EEENS1_30default_config_static_selectorELNS0_4arch9wavefront6targetE0EEEvT1_.kd
    .uniform_work_group_size: 1
    .uses_dynamic_stack: false
    .vgpr_count:     0
    .vgpr_spill_count: 0
    .wavefront_size: 32
    .workgroup_processor_mode: 1
  - .args:
      - .offset:         0
        .size:           48
        .value_kind:     by_value
    .group_segment_fixed_size: 0
    .kernarg_segment_align: 8
    .kernarg_segment_size: 48
    .language:       OpenCL C
    .language_version:
      - 2
      - 0
    .max_flat_workgroup_size: 128
    .name:           _ZN7rocprim17ROCPRIM_400000_NS6detail17trampoline_kernelINS0_14default_configENS1_25transform_config_selectorImLb0EEEZNS1_14transform_implILb0ES3_S5_NS0_17constant_iteratorImlEEPmNS0_8identityImEEEE10hipError_tT2_T3_mT4_P12ihipStream_tbEUlT_E_NS1_11comp_targetILNS1_3genE3ELNS1_11target_archE908ELNS1_3gpuE7ELNS1_3repE0EEENS1_30default_config_static_selectorELNS0_4arch9wavefront6targetE0EEEvT1_
    .private_segment_fixed_size: 0
    .sgpr_count:     0
    .sgpr_spill_count: 0
    .symbol:         _ZN7rocprim17ROCPRIM_400000_NS6detail17trampoline_kernelINS0_14default_configENS1_25transform_config_selectorImLb0EEEZNS1_14transform_implILb0ES3_S5_NS0_17constant_iteratorImlEEPmNS0_8identityImEEEE10hipError_tT2_T3_mT4_P12ihipStream_tbEUlT_E_NS1_11comp_targetILNS1_3genE3ELNS1_11target_archE908ELNS1_3gpuE7ELNS1_3repE0EEENS1_30default_config_static_selectorELNS0_4arch9wavefront6targetE0EEEvT1_.kd
    .uniform_work_group_size: 1
    .uses_dynamic_stack: false
    .vgpr_count:     0
    .vgpr_spill_count: 0
    .wavefront_size: 32
    .workgroup_processor_mode: 1
  - .args:
      - .offset:         0
        .size:           48
        .value_kind:     by_value
    .group_segment_fixed_size: 0
    .kernarg_segment_align: 8
    .kernarg_segment_size: 48
    .language:       OpenCL C
    .language_version:
      - 2
      - 0
    .max_flat_workgroup_size: 512
    .name:           _ZN7rocprim17ROCPRIM_400000_NS6detail17trampoline_kernelINS0_14default_configENS1_25transform_config_selectorImLb0EEEZNS1_14transform_implILb0ES3_S5_NS0_17constant_iteratorImlEEPmNS0_8identityImEEEE10hipError_tT2_T3_mT4_P12ihipStream_tbEUlT_E_NS1_11comp_targetILNS1_3genE2ELNS1_11target_archE906ELNS1_3gpuE6ELNS1_3repE0EEENS1_30default_config_static_selectorELNS0_4arch9wavefront6targetE0EEEvT1_
    .private_segment_fixed_size: 0
    .sgpr_count:     0
    .sgpr_spill_count: 0
    .symbol:         _ZN7rocprim17ROCPRIM_400000_NS6detail17trampoline_kernelINS0_14default_configENS1_25transform_config_selectorImLb0EEEZNS1_14transform_implILb0ES3_S5_NS0_17constant_iteratorImlEEPmNS0_8identityImEEEE10hipError_tT2_T3_mT4_P12ihipStream_tbEUlT_E_NS1_11comp_targetILNS1_3genE2ELNS1_11target_archE906ELNS1_3gpuE6ELNS1_3repE0EEENS1_30default_config_static_selectorELNS0_4arch9wavefront6targetE0EEEvT1_.kd
    .uniform_work_group_size: 1
    .uses_dynamic_stack: false
    .vgpr_count:     0
    .vgpr_spill_count: 0
    .wavefront_size: 32
    .workgroup_processor_mode: 1
  - .args:
      - .offset:         0
        .size:           48
        .value_kind:     by_value
    .group_segment_fixed_size: 0
    .kernarg_segment_align: 8
    .kernarg_segment_size: 48
    .language:       OpenCL C
    .language_version:
      - 2
      - 0
    .max_flat_workgroup_size: 1024
    .name:           _ZN7rocprim17ROCPRIM_400000_NS6detail17trampoline_kernelINS0_14default_configENS1_25transform_config_selectorImLb0EEEZNS1_14transform_implILb0ES3_S5_NS0_17constant_iteratorImlEEPmNS0_8identityImEEEE10hipError_tT2_T3_mT4_P12ihipStream_tbEUlT_E_NS1_11comp_targetILNS1_3genE10ELNS1_11target_archE1201ELNS1_3gpuE5ELNS1_3repE0EEENS1_30default_config_static_selectorELNS0_4arch9wavefront6targetE0EEEvT1_
    .private_segment_fixed_size: 0
    .sgpr_count:     0
    .sgpr_spill_count: 0
    .symbol:         _ZN7rocprim17ROCPRIM_400000_NS6detail17trampoline_kernelINS0_14default_configENS1_25transform_config_selectorImLb0EEEZNS1_14transform_implILb0ES3_S5_NS0_17constant_iteratorImlEEPmNS0_8identityImEEEE10hipError_tT2_T3_mT4_P12ihipStream_tbEUlT_E_NS1_11comp_targetILNS1_3genE10ELNS1_11target_archE1201ELNS1_3gpuE5ELNS1_3repE0EEENS1_30default_config_static_selectorELNS0_4arch9wavefront6targetE0EEEvT1_.kd
    .uniform_work_group_size: 1
    .uses_dynamic_stack: false
    .vgpr_count:     0
    .vgpr_spill_count: 0
    .wavefront_size: 32
    .workgroup_processor_mode: 1
  - .args:
      - .offset:         0
        .size:           48
        .value_kind:     by_value
    .group_segment_fixed_size: 0
    .kernarg_segment_align: 8
    .kernarg_segment_size: 48
    .language:       OpenCL C
    .language_version:
      - 2
      - 0
    .max_flat_workgroup_size: 512
    .name:           _ZN7rocprim17ROCPRIM_400000_NS6detail17trampoline_kernelINS0_14default_configENS1_25transform_config_selectorImLb0EEEZNS1_14transform_implILb0ES3_S5_NS0_17constant_iteratorImlEEPmNS0_8identityImEEEE10hipError_tT2_T3_mT4_P12ihipStream_tbEUlT_E_NS1_11comp_targetILNS1_3genE10ELNS1_11target_archE1200ELNS1_3gpuE4ELNS1_3repE0EEENS1_30default_config_static_selectorELNS0_4arch9wavefront6targetE0EEEvT1_
    .private_segment_fixed_size: 0
    .sgpr_count:     0
    .sgpr_spill_count: 0
    .symbol:         _ZN7rocprim17ROCPRIM_400000_NS6detail17trampoline_kernelINS0_14default_configENS1_25transform_config_selectorImLb0EEEZNS1_14transform_implILb0ES3_S5_NS0_17constant_iteratorImlEEPmNS0_8identityImEEEE10hipError_tT2_T3_mT4_P12ihipStream_tbEUlT_E_NS1_11comp_targetILNS1_3genE10ELNS1_11target_archE1200ELNS1_3gpuE4ELNS1_3repE0EEENS1_30default_config_static_selectorELNS0_4arch9wavefront6targetE0EEEvT1_.kd
    .uniform_work_group_size: 1
    .uses_dynamic_stack: false
    .vgpr_count:     0
    .vgpr_spill_count: 0
    .wavefront_size: 32
    .workgroup_processor_mode: 1
  - .args:
      - .offset:         0
        .size:           48
        .value_kind:     by_value
    .group_segment_fixed_size: 0
    .kernarg_segment_align: 8
    .kernarg_segment_size: 48
    .language:       OpenCL C
    .language_version:
      - 2
      - 0
    .max_flat_workgroup_size: 512
    .name:           _ZN7rocprim17ROCPRIM_400000_NS6detail17trampoline_kernelINS0_14default_configENS1_25transform_config_selectorImLb0EEEZNS1_14transform_implILb0ES3_S5_NS0_17constant_iteratorImlEEPmNS0_8identityImEEEE10hipError_tT2_T3_mT4_P12ihipStream_tbEUlT_E_NS1_11comp_targetILNS1_3genE9ELNS1_11target_archE1100ELNS1_3gpuE3ELNS1_3repE0EEENS1_30default_config_static_selectorELNS0_4arch9wavefront6targetE0EEEvT1_
    .private_segment_fixed_size: 0
    .sgpr_count:     0
    .sgpr_spill_count: 0
    .symbol:         _ZN7rocprim17ROCPRIM_400000_NS6detail17trampoline_kernelINS0_14default_configENS1_25transform_config_selectorImLb0EEEZNS1_14transform_implILb0ES3_S5_NS0_17constant_iteratorImlEEPmNS0_8identityImEEEE10hipError_tT2_T3_mT4_P12ihipStream_tbEUlT_E_NS1_11comp_targetILNS1_3genE9ELNS1_11target_archE1100ELNS1_3gpuE3ELNS1_3repE0EEENS1_30default_config_static_selectorELNS0_4arch9wavefront6targetE0EEEvT1_.kd
    .uniform_work_group_size: 1
    .uses_dynamic_stack: false
    .vgpr_count:     0
    .vgpr_spill_count: 0
    .wavefront_size: 32
    .workgroup_processor_mode: 1
  - .args:
      - .offset:         0
        .size:           48
        .value_kind:     by_value
      - .offset:         48
        .size:           4
        .value_kind:     hidden_block_count_x
      - .offset:         52
        .size:           4
        .value_kind:     hidden_block_count_y
      - .offset:         56
        .size:           4
        .value_kind:     hidden_block_count_z
      - .offset:         60
        .size:           2
        .value_kind:     hidden_group_size_x
      - .offset:         62
        .size:           2
        .value_kind:     hidden_group_size_y
      - .offset:         64
        .size:           2
        .value_kind:     hidden_group_size_z
      - .offset:         66
        .size:           2
        .value_kind:     hidden_remainder_x
      - .offset:         68
        .size:           2
        .value_kind:     hidden_remainder_y
      - .offset:         70
        .size:           2
        .value_kind:     hidden_remainder_z
      - .offset:         88
        .size:           8
        .value_kind:     hidden_global_offset_x
      - .offset:         96
        .size:           8
        .value_kind:     hidden_global_offset_y
      - .offset:         104
        .size:           8
        .value_kind:     hidden_global_offset_z
      - .offset:         112
        .size:           2
        .value_kind:     hidden_grid_dims
    .group_segment_fixed_size: 0
    .kernarg_segment_align: 8
    .kernarg_segment_size: 304
    .language:       OpenCL C
    .language_version:
      - 2
      - 0
    .max_flat_workgroup_size: 512
    .name:           _ZN7rocprim17ROCPRIM_400000_NS6detail17trampoline_kernelINS0_14default_configENS1_25transform_config_selectorImLb0EEEZNS1_14transform_implILb0ES3_S5_NS0_17constant_iteratorImlEEPmNS0_8identityImEEEE10hipError_tT2_T3_mT4_P12ihipStream_tbEUlT_E_NS1_11comp_targetILNS1_3genE8ELNS1_11target_archE1030ELNS1_3gpuE2ELNS1_3repE0EEENS1_30default_config_static_selectorELNS0_4arch9wavefront6targetE0EEEvT1_
    .private_segment_fixed_size: 0
    .sgpr_count:     15
    .sgpr_spill_count: 0
    .symbol:         _ZN7rocprim17ROCPRIM_400000_NS6detail17trampoline_kernelINS0_14default_configENS1_25transform_config_selectorImLb0EEEZNS1_14transform_implILb0ES3_S5_NS0_17constant_iteratorImlEEPmNS0_8identityImEEEE10hipError_tT2_T3_mT4_P12ihipStream_tbEUlT_E_NS1_11comp_targetILNS1_3genE8ELNS1_11target_archE1030ELNS1_3gpuE2ELNS1_3repE0EEENS1_30default_config_static_selectorELNS0_4arch9wavefront6targetE0EEEvT1_.kd
    .uniform_work_group_size: 1
    .uses_dynamic_stack: false
    .vgpr_count:     6
    .vgpr_spill_count: 0
    .wavefront_size: 32
    .workgroup_processor_mode: 1
  - .args:
      - .address_space:  global
        .offset:         0
        .size:           8
        .value_kind:     global_buffer
      - .offset:         8
        .size:           4
        .value_kind:     by_value
      - .offset:         12
        .size:           1
        .value_kind:     by_value
      - .offset:         16
        .size:           4
        .value_kind:     by_value
      - .address_space:  global
        .offset:         24
        .size:           8
        .value_kind:     global_buffer
      - .address_space:  global
        .offset:         32
        .size:           8
        .value_kind:     global_buffer
      - .offset:         40
        .size:           1
        .value_kind:     by_value
      - .offset:         48
        .size:           4
        .value_kind:     hidden_block_count_x
      - .offset:         52
        .size:           4
        .value_kind:     hidden_block_count_y
      - .offset:         56
        .size:           4
        .value_kind:     hidden_block_count_z
      - .offset:         60
        .size:           2
        .value_kind:     hidden_group_size_x
      - .offset:         62
        .size:           2
        .value_kind:     hidden_group_size_y
      - .offset:         64
        .size:           2
        .value_kind:     hidden_group_size_z
      - .offset:         66
        .size:           2
        .value_kind:     hidden_remainder_x
      - .offset:         68
        .size:           2
        .value_kind:     hidden_remainder_y
      - .offset:         70
        .size:           2
        .value_kind:     hidden_remainder_z
      - .offset:         88
        .size:           8
        .value_kind:     hidden_global_offset_x
      - .offset:         96
        .size:           8
        .value_kind:     hidden_global_offset_y
      - .offset:         104
        .size:           8
        .value_kind:     hidden_global_offset_z
      - .offset:         112
        .size:           2
        .value_kind:     hidden_grid_dims
    .group_segment_fixed_size: 0
    .kernarg_segment_align: 8
    .kernarg_segment_size: 304
    .language:       OpenCL C
    .language_version:
      - 2
      - 0
    .max_flat_workgroup_size: 256
    .name:           _ZN7rocprim17ROCPRIM_400000_NS6detail25reduce_by_key_init_kernelINS1_19lookback_scan_stateINS0_5tupleIJjiEEELb0ELb1EEEiNS1_16block_id_wrapperIjLb0EEEEEvT_jbjPmPT0_T1_
    .private_segment_fixed_size: 0
    .sgpr_count:     18
    .sgpr_spill_count: 0
    .symbol:         _ZN7rocprim17ROCPRIM_400000_NS6detail25reduce_by_key_init_kernelINS1_19lookback_scan_stateINS0_5tupleIJjiEEELb0ELb1EEEiNS1_16block_id_wrapperIjLb0EEEEEvT_jbjPmPT0_T1_.kd
    .uniform_work_group_size: 1
    .uses_dynamic_stack: false
    .vgpr_count:     8
    .vgpr_spill_count: 0
    .wavefront_size: 32
    .workgroup_processor_mode: 1
  - .args:
      - .offset:         0
        .size:           120
        .value_kind:     by_value
    .group_segment_fixed_size: 0
    .kernarg_segment_align: 8
    .kernarg_segment_size: 120
    .language:       OpenCL C
    .language_version:
      - 2
      - 0
    .max_flat_workgroup_size: 256
    .name:           _ZN7rocprim17ROCPRIM_400000_NS6detail17trampoline_kernelINS0_14default_configENS1_29reduce_by_key_config_selectorIiiN6thrust23THRUST_200600_302600_NS4plusIiEEEEZZNS1_33reduce_by_key_impl_wrapped_configILNS1_25lookback_scan_determinismE0ES3_S9_NS6_18transform_iteratorI25linear_index_to_row_indexIiENS6_17counting_iteratorIiNS6_11use_defaultESG_SG_EESG_SG_EENS6_6detail15normal_iteratorINS6_10device_ptrIiEEEESN_SN_PmS8_NS6_8equal_toIiEEEE10hipError_tPvRmT2_T3_mT4_T5_T6_T7_T8_P12ihipStream_tbENKUlT_T0_E_clISt17integral_constantIbLb0EES18_EEDaS13_S14_EUlS13_E_NS1_11comp_targetILNS1_3genE0ELNS1_11target_archE4294967295ELNS1_3gpuE0ELNS1_3repE0EEENS1_30default_config_static_selectorELNS0_4arch9wavefront6targetE0EEEvT1_
    .private_segment_fixed_size: 0
    .sgpr_count:     0
    .sgpr_spill_count: 0
    .symbol:         _ZN7rocprim17ROCPRIM_400000_NS6detail17trampoline_kernelINS0_14default_configENS1_29reduce_by_key_config_selectorIiiN6thrust23THRUST_200600_302600_NS4plusIiEEEEZZNS1_33reduce_by_key_impl_wrapped_configILNS1_25lookback_scan_determinismE0ES3_S9_NS6_18transform_iteratorI25linear_index_to_row_indexIiENS6_17counting_iteratorIiNS6_11use_defaultESG_SG_EESG_SG_EENS6_6detail15normal_iteratorINS6_10device_ptrIiEEEESN_SN_PmS8_NS6_8equal_toIiEEEE10hipError_tPvRmT2_T3_mT4_T5_T6_T7_T8_P12ihipStream_tbENKUlT_T0_E_clISt17integral_constantIbLb0EES18_EEDaS13_S14_EUlS13_E_NS1_11comp_targetILNS1_3genE0ELNS1_11target_archE4294967295ELNS1_3gpuE0ELNS1_3repE0EEENS1_30default_config_static_selectorELNS0_4arch9wavefront6targetE0EEEvT1_.kd
    .uniform_work_group_size: 1
    .uses_dynamic_stack: false
    .vgpr_count:     0
    .vgpr_spill_count: 0
    .wavefront_size: 32
    .workgroup_processor_mode: 1
  - .args:
      - .offset:         0
        .size:           120
        .value_kind:     by_value
    .group_segment_fixed_size: 0
    .kernarg_segment_align: 8
    .kernarg_segment_size: 120
    .language:       OpenCL C
    .language_version:
      - 2
      - 0
    .max_flat_workgroup_size: 256
    .name:           _ZN7rocprim17ROCPRIM_400000_NS6detail17trampoline_kernelINS0_14default_configENS1_29reduce_by_key_config_selectorIiiN6thrust23THRUST_200600_302600_NS4plusIiEEEEZZNS1_33reduce_by_key_impl_wrapped_configILNS1_25lookback_scan_determinismE0ES3_S9_NS6_18transform_iteratorI25linear_index_to_row_indexIiENS6_17counting_iteratorIiNS6_11use_defaultESG_SG_EESG_SG_EENS6_6detail15normal_iteratorINS6_10device_ptrIiEEEESN_SN_PmS8_NS6_8equal_toIiEEEE10hipError_tPvRmT2_T3_mT4_T5_T6_T7_T8_P12ihipStream_tbENKUlT_T0_E_clISt17integral_constantIbLb0EES18_EEDaS13_S14_EUlS13_E_NS1_11comp_targetILNS1_3genE5ELNS1_11target_archE942ELNS1_3gpuE9ELNS1_3repE0EEENS1_30default_config_static_selectorELNS0_4arch9wavefront6targetE0EEEvT1_
    .private_segment_fixed_size: 0
    .sgpr_count:     0
    .sgpr_spill_count: 0
    .symbol:         _ZN7rocprim17ROCPRIM_400000_NS6detail17trampoline_kernelINS0_14default_configENS1_29reduce_by_key_config_selectorIiiN6thrust23THRUST_200600_302600_NS4plusIiEEEEZZNS1_33reduce_by_key_impl_wrapped_configILNS1_25lookback_scan_determinismE0ES3_S9_NS6_18transform_iteratorI25linear_index_to_row_indexIiENS6_17counting_iteratorIiNS6_11use_defaultESG_SG_EESG_SG_EENS6_6detail15normal_iteratorINS6_10device_ptrIiEEEESN_SN_PmS8_NS6_8equal_toIiEEEE10hipError_tPvRmT2_T3_mT4_T5_T6_T7_T8_P12ihipStream_tbENKUlT_T0_E_clISt17integral_constantIbLb0EES18_EEDaS13_S14_EUlS13_E_NS1_11comp_targetILNS1_3genE5ELNS1_11target_archE942ELNS1_3gpuE9ELNS1_3repE0EEENS1_30default_config_static_selectorELNS0_4arch9wavefront6targetE0EEEvT1_.kd
    .uniform_work_group_size: 1
    .uses_dynamic_stack: false
    .vgpr_count:     0
    .vgpr_spill_count: 0
    .wavefront_size: 32
    .workgroup_processor_mode: 1
  - .args:
      - .offset:         0
        .size:           120
        .value_kind:     by_value
    .group_segment_fixed_size: 0
    .kernarg_segment_align: 8
    .kernarg_segment_size: 120
    .language:       OpenCL C
    .language_version:
      - 2
      - 0
    .max_flat_workgroup_size: 256
    .name:           _ZN7rocprim17ROCPRIM_400000_NS6detail17trampoline_kernelINS0_14default_configENS1_29reduce_by_key_config_selectorIiiN6thrust23THRUST_200600_302600_NS4plusIiEEEEZZNS1_33reduce_by_key_impl_wrapped_configILNS1_25lookback_scan_determinismE0ES3_S9_NS6_18transform_iteratorI25linear_index_to_row_indexIiENS6_17counting_iteratorIiNS6_11use_defaultESG_SG_EESG_SG_EENS6_6detail15normal_iteratorINS6_10device_ptrIiEEEESN_SN_PmS8_NS6_8equal_toIiEEEE10hipError_tPvRmT2_T3_mT4_T5_T6_T7_T8_P12ihipStream_tbENKUlT_T0_E_clISt17integral_constantIbLb0EES18_EEDaS13_S14_EUlS13_E_NS1_11comp_targetILNS1_3genE4ELNS1_11target_archE910ELNS1_3gpuE8ELNS1_3repE0EEENS1_30default_config_static_selectorELNS0_4arch9wavefront6targetE0EEEvT1_
    .private_segment_fixed_size: 0
    .sgpr_count:     0
    .sgpr_spill_count: 0
    .symbol:         _ZN7rocprim17ROCPRIM_400000_NS6detail17trampoline_kernelINS0_14default_configENS1_29reduce_by_key_config_selectorIiiN6thrust23THRUST_200600_302600_NS4plusIiEEEEZZNS1_33reduce_by_key_impl_wrapped_configILNS1_25lookback_scan_determinismE0ES3_S9_NS6_18transform_iteratorI25linear_index_to_row_indexIiENS6_17counting_iteratorIiNS6_11use_defaultESG_SG_EESG_SG_EENS6_6detail15normal_iteratorINS6_10device_ptrIiEEEESN_SN_PmS8_NS6_8equal_toIiEEEE10hipError_tPvRmT2_T3_mT4_T5_T6_T7_T8_P12ihipStream_tbENKUlT_T0_E_clISt17integral_constantIbLb0EES18_EEDaS13_S14_EUlS13_E_NS1_11comp_targetILNS1_3genE4ELNS1_11target_archE910ELNS1_3gpuE8ELNS1_3repE0EEENS1_30default_config_static_selectorELNS0_4arch9wavefront6targetE0EEEvT1_.kd
    .uniform_work_group_size: 1
    .uses_dynamic_stack: false
    .vgpr_count:     0
    .vgpr_spill_count: 0
    .wavefront_size: 32
    .workgroup_processor_mode: 1
  - .args:
      - .offset:         0
        .size:           120
        .value_kind:     by_value
    .group_segment_fixed_size: 0
    .kernarg_segment_align: 8
    .kernarg_segment_size: 120
    .language:       OpenCL C
    .language_version:
      - 2
      - 0
    .max_flat_workgroup_size: 256
    .name:           _ZN7rocprim17ROCPRIM_400000_NS6detail17trampoline_kernelINS0_14default_configENS1_29reduce_by_key_config_selectorIiiN6thrust23THRUST_200600_302600_NS4plusIiEEEEZZNS1_33reduce_by_key_impl_wrapped_configILNS1_25lookback_scan_determinismE0ES3_S9_NS6_18transform_iteratorI25linear_index_to_row_indexIiENS6_17counting_iteratorIiNS6_11use_defaultESG_SG_EESG_SG_EENS6_6detail15normal_iteratorINS6_10device_ptrIiEEEESN_SN_PmS8_NS6_8equal_toIiEEEE10hipError_tPvRmT2_T3_mT4_T5_T6_T7_T8_P12ihipStream_tbENKUlT_T0_E_clISt17integral_constantIbLb0EES18_EEDaS13_S14_EUlS13_E_NS1_11comp_targetILNS1_3genE3ELNS1_11target_archE908ELNS1_3gpuE7ELNS1_3repE0EEENS1_30default_config_static_selectorELNS0_4arch9wavefront6targetE0EEEvT1_
    .private_segment_fixed_size: 0
    .sgpr_count:     0
    .sgpr_spill_count: 0
    .symbol:         _ZN7rocprim17ROCPRIM_400000_NS6detail17trampoline_kernelINS0_14default_configENS1_29reduce_by_key_config_selectorIiiN6thrust23THRUST_200600_302600_NS4plusIiEEEEZZNS1_33reduce_by_key_impl_wrapped_configILNS1_25lookback_scan_determinismE0ES3_S9_NS6_18transform_iteratorI25linear_index_to_row_indexIiENS6_17counting_iteratorIiNS6_11use_defaultESG_SG_EESG_SG_EENS6_6detail15normal_iteratorINS6_10device_ptrIiEEEESN_SN_PmS8_NS6_8equal_toIiEEEE10hipError_tPvRmT2_T3_mT4_T5_T6_T7_T8_P12ihipStream_tbENKUlT_T0_E_clISt17integral_constantIbLb0EES18_EEDaS13_S14_EUlS13_E_NS1_11comp_targetILNS1_3genE3ELNS1_11target_archE908ELNS1_3gpuE7ELNS1_3repE0EEENS1_30default_config_static_selectorELNS0_4arch9wavefront6targetE0EEEvT1_.kd
    .uniform_work_group_size: 1
    .uses_dynamic_stack: false
    .vgpr_count:     0
    .vgpr_spill_count: 0
    .wavefront_size: 32
    .workgroup_processor_mode: 1
  - .args:
      - .offset:         0
        .size:           120
        .value_kind:     by_value
    .group_segment_fixed_size: 0
    .kernarg_segment_align: 8
    .kernarg_segment_size: 120
    .language:       OpenCL C
    .language_version:
      - 2
      - 0
    .max_flat_workgroup_size: 256
    .name:           _ZN7rocprim17ROCPRIM_400000_NS6detail17trampoline_kernelINS0_14default_configENS1_29reduce_by_key_config_selectorIiiN6thrust23THRUST_200600_302600_NS4plusIiEEEEZZNS1_33reduce_by_key_impl_wrapped_configILNS1_25lookback_scan_determinismE0ES3_S9_NS6_18transform_iteratorI25linear_index_to_row_indexIiENS6_17counting_iteratorIiNS6_11use_defaultESG_SG_EESG_SG_EENS6_6detail15normal_iteratorINS6_10device_ptrIiEEEESN_SN_PmS8_NS6_8equal_toIiEEEE10hipError_tPvRmT2_T3_mT4_T5_T6_T7_T8_P12ihipStream_tbENKUlT_T0_E_clISt17integral_constantIbLb0EES18_EEDaS13_S14_EUlS13_E_NS1_11comp_targetILNS1_3genE2ELNS1_11target_archE906ELNS1_3gpuE6ELNS1_3repE0EEENS1_30default_config_static_selectorELNS0_4arch9wavefront6targetE0EEEvT1_
    .private_segment_fixed_size: 0
    .sgpr_count:     0
    .sgpr_spill_count: 0
    .symbol:         _ZN7rocprim17ROCPRIM_400000_NS6detail17trampoline_kernelINS0_14default_configENS1_29reduce_by_key_config_selectorIiiN6thrust23THRUST_200600_302600_NS4plusIiEEEEZZNS1_33reduce_by_key_impl_wrapped_configILNS1_25lookback_scan_determinismE0ES3_S9_NS6_18transform_iteratorI25linear_index_to_row_indexIiENS6_17counting_iteratorIiNS6_11use_defaultESG_SG_EESG_SG_EENS6_6detail15normal_iteratorINS6_10device_ptrIiEEEESN_SN_PmS8_NS6_8equal_toIiEEEE10hipError_tPvRmT2_T3_mT4_T5_T6_T7_T8_P12ihipStream_tbENKUlT_T0_E_clISt17integral_constantIbLb0EES18_EEDaS13_S14_EUlS13_E_NS1_11comp_targetILNS1_3genE2ELNS1_11target_archE906ELNS1_3gpuE6ELNS1_3repE0EEENS1_30default_config_static_selectorELNS0_4arch9wavefront6targetE0EEEvT1_.kd
    .uniform_work_group_size: 1
    .uses_dynamic_stack: false
    .vgpr_count:     0
    .vgpr_spill_count: 0
    .wavefront_size: 32
    .workgroup_processor_mode: 1
  - .args:
      - .offset:         0
        .size:           120
        .value_kind:     by_value
    .group_segment_fixed_size: 0
    .kernarg_segment_align: 8
    .kernarg_segment_size: 120
    .language:       OpenCL C
    .language_version:
      - 2
      - 0
    .max_flat_workgroup_size: 256
    .name:           _ZN7rocprim17ROCPRIM_400000_NS6detail17trampoline_kernelINS0_14default_configENS1_29reduce_by_key_config_selectorIiiN6thrust23THRUST_200600_302600_NS4plusIiEEEEZZNS1_33reduce_by_key_impl_wrapped_configILNS1_25lookback_scan_determinismE0ES3_S9_NS6_18transform_iteratorI25linear_index_to_row_indexIiENS6_17counting_iteratorIiNS6_11use_defaultESG_SG_EESG_SG_EENS6_6detail15normal_iteratorINS6_10device_ptrIiEEEESN_SN_PmS8_NS6_8equal_toIiEEEE10hipError_tPvRmT2_T3_mT4_T5_T6_T7_T8_P12ihipStream_tbENKUlT_T0_E_clISt17integral_constantIbLb0EES18_EEDaS13_S14_EUlS13_E_NS1_11comp_targetILNS1_3genE10ELNS1_11target_archE1201ELNS1_3gpuE5ELNS1_3repE0EEENS1_30default_config_static_selectorELNS0_4arch9wavefront6targetE0EEEvT1_
    .private_segment_fixed_size: 0
    .sgpr_count:     0
    .sgpr_spill_count: 0
    .symbol:         _ZN7rocprim17ROCPRIM_400000_NS6detail17trampoline_kernelINS0_14default_configENS1_29reduce_by_key_config_selectorIiiN6thrust23THRUST_200600_302600_NS4plusIiEEEEZZNS1_33reduce_by_key_impl_wrapped_configILNS1_25lookback_scan_determinismE0ES3_S9_NS6_18transform_iteratorI25linear_index_to_row_indexIiENS6_17counting_iteratorIiNS6_11use_defaultESG_SG_EESG_SG_EENS6_6detail15normal_iteratorINS6_10device_ptrIiEEEESN_SN_PmS8_NS6_8equal_toIiEEEE10hipError_tPvRmT2_T3_mT4_T5_T6_T7_T8_P12ihipStream_tbENKUlT_T0_E_clISt17integral_constantIbLb0EES18_EEDaS13_S14_EUlS13_E_NS1_11comp_targetILNS1_3genE10ELNS1_11target_archE1201ELNS1_3gpuE5ELNS1_3repE0EEENS1_30default_config_static_selectorELNS0_4arch9wavefront6targetE0EEEvT1_.kd
    .uniform_work_group_size: 1
    .uses_dynamic_stack: false
    .vgpr_count:     0
    .vgpr_spill_count: 0
    .wavefront_size: 32
    .workgroup_processor_mode: 1
  - .args:
      - .offset:         0
        .size:           120
        .value_kind:     by_value
    .group_segment_fixed_size: 0
    .kernarg_segment_align: 8
    .kernarg_segment_size: 120
    .language:       OpenCL C
    .language_version:
      - 2
      - 0
    .max_flat_workgroup_size: 256
    .name:           _ZN7rocprim17ROCPRIM_400000_NS6detail17trampoline_kernelINS0_14default_configENS1_29reduce_by_key_config_selectorIiiN6thrust23THRUST_200600_302600_NS4plusIiEEEEZZNS1_33reduce_by_key_impl_wrapped_configILNS1_25lookback_scan_determinismE0ES3_S9_NS6_18transform_iteratorI25linear_index_to_row_indexIiENS6_17counting_iteratorIiNS6_11use_defaultESG_SG_EESG_SG_EENS6_6detail15normal_iteratorINS6_10device_ptrIiEEEESN_SN_PmS8_NS6_8equal_toIiEEEE10hipError_tPvRmT2_T3_mT4_T5_T6_T7_T8_P12ihipStream_tbENKUlT_T0_E_clISt17integral_constantIbLb0EES18_EEDaS13_S14_EUlS13_E_NS1_11comp_targetILNS1_3genE10ELNS1_11target_archE1200ELNS1_3gpuE4ELNS1_3repE0EEENS1_30default_config_static_selectorELNS0_4arch9wavefront6targetE0EEEvT1_
    .private_segment_fixed_size: 0
    .sgpr_count:     0
    .sgpr_spill_count: 0
    .symbol:         _ZN7rocprim17ROCPRIM_400000_NS6detail17trampoline_kernelINS0_14default_configENS1_29reduce_by_key_config_selectorIiiN6thrust23THRUST_200600_302600_NS4plusIiEEEEZZNS1_33reduce_by_key_impl_wrapped_configILNS1_25lookback_scan_determinismE0ES3_S9_NS6_18transform_iteratorI25linear_index_to_row_indexIiENS6_17counting_iteratorIiNS6_11use_defaultESG_SG_EESG_SG_EENS6_6detail15normal_iteratorINS6_10device_ptrIiEEEESN_SN_PmS8_NS6_8equal_toIiEEEE10hipError_tPvRmT2_T3_mT4_T5_T6_T7_T8_P12ihipStream_tbENKUlT_T0_E_clISt17integral_constantIbLb0EES18_EEDaS13_S14_EUlS13_E_NS1_11comp_targetILNS1_3genE10ELNS1_11target_archE1200ELNS1_3gpuE4ELNS1_3repE0EEENS1_30default_config_static_selectorELNS0_4arch9wavefront6targetE0EEEvT1_.kd
    .uniform_work_group_size: 1
    .uses_dynamic_stack: false
    .vgpr_count:     0
    .vgpr_spill_count: 0
    .wavefront_size: 32
    .workgroup_processor_mode: 1
  - .args:
      - .offset:         0
        .size:           120
        .value_kind:     by_value
    .group_segment_fixed_size: 0
    .kernarg_segment_align: 8
    .kernarg_segment_size: 120
    .language:       OpenCL C
    .language_version:
      - 2
      - 0
    .max_flat_workgroup_size: 256
    .name:           _ZN7rocprim17ROCPRIM_400000_NS6detail17trampoline_kernelINS0_14default_configENS1_29reduce_by_key_config_selectorIiiN6thrust23THRUST_200600_302600_NS4plusIiEEEEZZNS1_33reduce_by_key_impl_wrapped_configILNS1_25lookback_scan_determinismE0ES3_S9_NS6_18transform_iteratorI25linear_index_to_row_indexIiENS6_17counting_iteratorIiNS6_11use_defaultESG_SG_EESG_SG_EENS6_6detail15normal_iteratorINS6_10device_ptrIiEEEESN_SN_PmS8_NS6_8equal_toIiEEEE10hipError_tPvRmT2_T3_mT4_T5_T6_T7_T8_P12ihipStream_tbENKUlT_T0_E_clISt17integral_constantIbLb0EES18_EEDaS13_S14_EUlS13_E_NS1_11comp_targetILNS1_3genE9ELNS1_11target_archE1100ELNS1_3gpuE3ELNS1_3repE0EEENS1_30default_config_static_selectorELNS0_4arch9wavefront6targetE0EEEvT1_
    .private_segment_fixed_size: 0
    .sgpr_count:     0
    .sgpr_spill_count: 0
    .symbol:         _ZN7rocprim17ROCPRIM_400000_NS6detail17trampoline_kernelINS0_14default_configENS1_29reduce_by_key_config_selectorIiiN6thrust23THRUST_200600_302600_NS4plusIiEEEEZZNS1_33reduce_by_key_impl_wrapped_configILNS1_25lookback_scan_determinismE0ES3_S9_NS6_18transform_iteratorI25linear_index_to_row_indexIiENS6_17counting_iteratorIiNS6_11use_defaultESG_SG_EESG_SG_EENS6_6detail15normal_iteratorINS6_10device_ptrIiEEEESN_SN_PmS8_NS6_8equal_toIiEEEE10hipError_tPvRmT2_T3_mT4_T5_T6_T7_T8_P12ihipStream_tbENKUlT_T0_E_clISt17integral_constantIbLb0EES18_EEDaS13_S14_EUlS13_E_NS1_11comp_targetILNS1_3genE9ELNS1_11target_archE1100ELNS1_3gpuE3ELNS1_3repE0EEENS1_30default_config_static_selectorELNS0_4arch9wavefront6targetE0EEEvT1_.kd
    .uniform_work_group_size: 1
    .uses_dynamic_stack: false
    .vgpr_count:     0
    .vgpr_spill_count: 0
    .wavefront_size: 32
    .workgroup_processor_mode: 1
  - .args:
      - .offset:         0
        .size:           120
        .value_kind:     by_value
    .group_segment_fixed_size: 15360
    .kernarg_segment_align: 8
    .kernarg_segment_size: 120
    .language:       OpenCL C
    .language_version:
      - 2
      - 0
    .max_flat_workgroup_size: 256
    .name:           _ZN7rocprim17ROCPRIM_400000_NS6detail17trampoline_kernelINS0_14default_configENS1_29reduce_by_key_config_selectorIiiN6thrust23THRUST_200600_302600_NS4plusIiEEEEZZNS1_33reduce_by_key_impl_wrapped_configILNS1_25lookback_scan_determinismE0ES3_S9_NS6_18transform_iteratorI25linear_index_to_row_indexIiENS6_17counting_iteratorIiNS6_11use_defaultESG_SG_EESG_SG_EENS6_6detail15normal_iteratorINS6_10device_ptrIiEEEESN_SN_PmS8_NS6_8equal_toIiEEEE10hipError_tPvRmT2_T3_mT4_T5_T6_T7_T8_P12ihipStream_tbENKUlT_T0_E_clISt17integral_constantIbLb0EES18_EEDaS13_S14_EUlS13_E_NS1_11comp_targetILNS1_3genE8ELNS1_11target_archE1030ELNS1_3gpuE2ELNS1_3repE0EEENS1_30default_config_static_selectorELNS0_4arch9wavefront6targetE0EEEvT1_
    .private_segment_fixed_size: 0
    .sgpr_count:     52
    .sgpr_spill_count: 0
    .symbol:         _ZN7rocprim17ROCPRIM_400000_NS6detail17trampoline_kernelINS0_14default_configENS1_29reduce_by_key_config_selectorIiiN6thrust23THRUST_200600_302600_NS4plusIiEEEEZZNS1_33reduce_by_key_impl_wrapped_configILNS1_25lookback_scan_determinismE0ES3_S9_NS6_18transform_iteratorI25linear_index_to_row_indexIiENS6_17counting_iteratorIiNS6_11use_defaultESG_SG_EESG_SG_EENS6_6detail15normal_iteratorINS6_10device_ptrIiEEEESN_SN_PmS8_NS6_8equal_toIiEEEE10hipError_tPvRmT2_T3_mT4_T5_T6_T7_T8_P12ihipStream_tbENKUlT_T0_E_clISt17integral_constantIbLb0EES18_EEDaS13_S14_EUlS13_E_NS1_11comp_targetILNS1_3genE8ELNS1_11target_archE1030ELNS1_3gpuE2ELNS1_3repE0EEENS1_30default_config_static_selectorELNS0_4arch9wavefront6targetE0EEEvT1_.kd
    .uniform_work_group_size: 1
    .uses_dynamic_stack: false
    .vgpr_count:     87
    .vgpr_spill_count: 0
    .wavefront_size: 32
    .workgroup_processor_mode: 1
  - .args:
      - .address_space:  global
        .offset:         0
        .size:           8
        .value_kind:     global_buffer
      - .offset:         8
        .size:           4
        .value_kind:     by_value
      - .offset:         12
        .size:           1
        .value_kind:     by_value
      - .offset:         16
        .size:           4
        .value_kind:     by_value
      - .address_space:  global
        .offset:         24
        .size:           8
        .value_kind:     global_buffer
      - .address_space:  global
        .offset:         32
        .size:           8
        .value_kind:     global_buffer
      - .address_space:  global
        .offset:         40
        .size:           8
        .value_kind:     global_buffer
      - .offset:         48
        .size:           4
        .value_kind:     hidden_block_count_x
      - .offset:         52
        .size:           4
        .value_kind:     hidden_block_count_y
      - .offset:         56
        .size:           4
        .value_kind:     hidden_block_count_z
      - .offset:         60
        .size:           2
        .value_kind:     hidden_group_size_x
      - .offset:         62
        .size:           2
        .value_kind:     hidden_group_size_y
      - .offset:         64
        .size:           2
        .value_kind:     hidden_group_size_z
      - .offset:         66
        .size:           2
        .value_kind:     hidden_remainder_x
      - .offset:         68
        .size:           2
        .value_kind:     hidden_remainder_y
      - .offset:         70
        .size:           2
        .value_kind:     hidden_remainder_z
      - .offset:         88
        .size:           8
        .value_kind:     hidden_global_offset_x
      - .offset:         96
        .size:           8
        .value_kind:     hidden_global_offset_y
      - .offset:         104
        .size:           8
        .value_kind:     hidden_global_offset_z
      - .offset:         112
        .size:           2
        .value_kind:     hidden_grid_dims
    .group_segment_fixed_size: 0
    .kernarg_segment_align: 8
    .kernarg_segment_size: 304
    .language:       OpenCL C
    .language_version:
      - 2
      - 0
    .max_flat_workgroup_size: 256
    .name:           _ZN7rocprim17ROCPRIM_400000_NS6detail25reduce_by_key_init_kernelINS1_19lookback_scan_stateINS0_5tupleIJjiEEELb1ELb1EEEiNS1_16block_id_wrapperIjLb1EEEEEvT_jbjPmPT0_T1_
    .private_segment_fixed_size: 0
    .sgpr_count:     20
    .sgpr_spill_count: 0
    .symbol:         _ZN7rocprim17ROCPRIM_400000_NS6detail25reduce_by_key_init_kernelINS1_19lookback_scan_stateINS0_5tupleIJjiEEELb1ELb1EEEiNS1_16block_id_wrapperIjLb1EEEEEvT_jbjPmPT0_T1_.kd
    .uniform_work_group_size: 1
    .uses_dynamic_stack: false
    .vgpr_count:     8
    .vgpr_spill_count: 0
    .wavefront_size: 32
    .workgroup_processor_mode: 1
  - .args:
      - .offset:         0
        .size:           120
        .value_kind:     by_value
    .group_segment_fixed_size: 0
    .kernarg_segment_align: 8
    .kernarg_segment_size: 120
    .language:       OpenCL C
    .language_version:
      - 2
      - 0
    .max_flat_workgroup_size: 256
    .name:           _ZN7rocprim17ROCPRIM_400000_NS6detail17trampoline_kernelINS0_14default_configENS1_29reduce_by_key_config_selectorIiiN6thrust23THRUST_200600_302600_NS4plusIiEEEEZZNS1_33reduce_by_key_impl_wrapped_configILNS1_25lookback_scan_determinismE0ES3_S9_NS6_18transform_iteratorI25linear_index_to_row_indexIiENS6_17counting_iteratorIiNS6_11use_defaultESG_SG_EESG_SG_EENS6_6detail15normal_iteratorINS6_10device_ptrIiEEEESN_SN_PmS8_NS6_8equal_toIiEEEE10hipError_tPvRmT2_T3_mT4_T5_T6_T7_T8_P12ihipStream_tbENKUlT_T0_E_clISt17integral_constantIbLb1EES18_EEDaS13_S14_EUlS13_E_NS1_11comp_targetILNS1_3genE0ELNS1_11target_archE4294967295ELNS1_3gpuE0ELNS1_3repE0EEENS1_30default_config_static_selectorELNS0_4arch9wavefront6targetE0EEEvT1_
    .private_segment_fixed_size: 0
    .sgpr_count:     0
    .sgpr_spill_count: 0
    .symbol:         _ZN7rocprim17ROCPRIM_400000_NS6detail17trampoline_kernelINS0_14default_configENS1_29reduce_by_key_config_selectorIiiN6thrust23THRUST_200600_302600_NS4plusIiEEEEZZNS1_33reduce_by_key_impl_wrapped_configILNS1_25lookback_scan_determinismE0ES3_S9_NS6_18transform_iteratorI25linear_index_to_row_indexIiENS6_17counting_iteratorIiNS6_11use_defaultESG_SG_EESG_SG_EENS6_6detail15normal_iteratorINS6_10device_ptrIiEEEESN_SN_PmS8_NS6_8equal_toIiEEEE10hipError_tPvRmT2_T3_mT4_T5_T6_T7_T8_P12ihipStream_tbENKUlT_T0_E_clISt17integral_constantIbLb1EES18_EEDaS13_S14_EUlS13_E_NS1_11comp_targetILNS1_3genE0ELNS1_11target_archE4294967295ELNS1_3gpuE0ELNS1_3repE0EEENS1_30default_config_static_selectorELNS0_4arch9wavefront6targetE0EEEvT1_.kd
    .uniform_work_group_size: 1
    .uses_dynamic_stack: false
    .vgpr_count:     0
    .vgpr_spill_count: 0
    .wavefront_size: 32
    .workgroup_processor_mode: 1
  - .args:
      - .offset:         0
        .size:           120
        .value_kind:     by_value
    .group_segment_fixed_size: 0
    .kernarg_segment_align: 8
    .kernarg_segment_size: 120
    .language:       OpenCL C
    .language_version:
      - 2
      - 0
    .max_flat_workgroup_size: 256
    .name:           _ZN7rocprim17ROCPRIM_400000_NS6detail17trampoline_kernelINS0_14default_configENS1_29reduce_by_key_config_selectorIiiN6thrust23THRUST_200600_302600_NS4plusIiEEEEZZNS1_33reduce_by_key_impl_wrapped_configILNS1_25lookback_scan_determinismE0ES3_S9_NS6_18transform_iteratorI25linear_index_to_row_indexIiENS6_17counting_iteratorIiNS6_11use_defaultESG_SG_EESG_SG_EENS6_6detail15normal_iteratorINS6_10device_ptrIiEEEESN_SN_PmS8_NS6_8equal_toIiEEEE10hipError_tPvRmT2_T3_mT4_T5_T6_T7_T8_P12ihipStream_tbENKUlT_T0_E_clISt17integral_constantIbLb1EES18_EEDaS13_S14_EUlS13_E_NS1_11comp_targetILNS1_3genE5ELNS1_11target_archE942ELNS1_3gpuE9ELNS1_3repE0EEENS1_30default_config_static_selectorELNS0_4arch9wavefront6targetE0EEEvT1_
    .private_segment_fixed_size: 0
    .sgpr_count:     0
    .sgpr_spill_count: 0
    .symbol:         _ZN7rocprim17ROCPRIM_400000_NS6detail17trampoline_kernelINS0_14default_configENS1_29reduce_by_key_config_selectorIiiN6thrust23THRUST_200600_302600_NS4plusIiEEEEZZNS1_33reduce_by_key_impl_wrapped_configILNS1_25lookback_scan_determinismE0ES3_S9_NS6_18transform_iteratorI25linear_index_to_row_indexIiENS6_17counting_iteratorIiNS6_11use_defaultESG_SG_EESG_SG_EENS6_6detail15normal_iteratorINS6_10device_ptrIiEEEESN_SN_PmS8_NS6_8equal_toIiEEEE10hipError_tPvRmT2_T3_mT4_T5_T6_T7_T8_P12ihipStream_tbENKUlT_T0_E_clISt17integral_constantIbLb1EES18_EEDaS13_S14_EUlS13_E_NS1_11comp_targetILNS1_3genE5ELNS1_11target_archE942ELNS1_3gpuE9ELNS1_3repE0EEENS1_30default_config_static_selectorELNS0_4arch9wavefront6targetE0EEEvT1_.kd
    .uniform_work_group_size: 1
    .uses_dynamic_stack: false
    .vgpr_count:     0
    .vgpr_spill_count: 0
    .wavefront_size: 32
    .workgroup_processor_mode: 1
  - .args:
      - .offset:         0
        .size:           120
        .value_kind:     by_value
    .group_segment_fixed_size: 0
    .kernarg_segment_align: 8
    .kernarg_segment_size: 120
    .language:       OpenCL C
    .language_version:
      - 2
      - 0
    .max_flat_workgroup_size: 256
    .name:           _ZN7rocprim17ROCPRIM_400000_NS6detail17trampoline_kernelINS0_14default_configENS1_29reduce_by_key_config_selectorIiiN6thrust23THRUST_200600_302600_NS4plusIiEEEEZZNS1_33reduce_by_key_impl_wrapped_configILNS1_25lookback_scan_determinismE0ES3_S9_NS6_18transform_iteratorI25linear_index_to_row_indexIiENS6_17counting_iteratorIiNS6_11use_defaultESG_SG_EESG_SG_EENS6_6detail15normal_iteratorINS6_10device_ptrIiEEEESN_SN_PmS8_NS6_8equal_toIiEEEE10hipError_tPvRmT2_T3_mT4_T5_T6_T7_T8_P12ihipStream_tbENKUlT_T0_E_clISt17integral_constantIbLb1EES18_EEDaS13_S14_EUlS13_E_NS1_11comp_targetILNS1_3genE4ELNS1_11target_archE910ELNS1_3gpuE8ELNS1_3repE0EEENS1_30default_config_static_selectorELNS0_4arch9wavefront6targetE0EEEvT1_
    .private_segment_fixed_size: 0
    .sgpr_count:     0
    .sgpr_spill_count: 0
    .symbol:         _ZN7rocprim17ROCPRIM_400000_NS6detail17trampoline_kernelINS0_14default_configENS1_29reduce_by_key_config_selectorIiiN6thrust23THRUST_200600_302600_NS4plusIiEEEEZZNS1_33reduce_by_key_impl_wrapped_configILNS1_25lookback_scan_determinismE0ES3_S9_NS6_18transform_iteratorI25linear_index_to_row_indexIiENS6_17counting_iteratorIiNS6_11use_defaultESG_SG_EESG_SG_EENS6_6detail15normal_iteratorINS6_10device_ptrIiEEEESN_SN_PmS8_NS6_8equal_toIiEEEE10hipError_tPvRmT2_T3_mT4_T5_T6_T7_T8_P12ihipStream_tbENKUlT_T0_E_clISt17integral_constantIbLb1EES18_EEDaS13_S14_EUlS13_E_NS1_11comp_targetILNS1_3genE4ELNS1_11target_archE910ELNS1_3gpuE8ELNS1_3repE0EEENS1_30default_config_static_selectorELNS0_4arch9wavefront6targetE0EEEvT1_.kd
    .uniform_work_group_size: 1
    .uses_dynamic_stack: false
    .vgpr_count:     0
    .vgpr_spill_count: 0
    .wavefront_size: 32
    .workgroup_processor_mode: 1
  - .args:
      - .offset:         0
        .size:           120
        .value_kind:     by_value
    .group_segment_fixed_size: 0
    .kernarg_segment_align: 8
    .kernarg_segment_size: 120
    .language:       OpenCL C
    .language_version:
      - 2
      - 0
    .max_flat_workgroup_size: 256
    .name:           _ZN7rocprim17ROCPRIM_400000_NS6detail17trampoline_kernelINS0_14default_configENS1_29reduce_by_key_config_selectorIiiN6thrust23THRUST_200600_302600_NS4plusIiEEEEZZNS1_33reduce_by_key_impl_wrapped_configILNS1_25lookback_scan_determinismE0ES3_S9_NS6_18transform_iteratorI25linear_index_to_row_indexIiENS6_17counting_iteratorIiNS6_11use_defaultESG_SG_EESG_SG_EENS6_6detail15normal_iteratorINS6_10device_ptrIiEEEESN_SN_PmS8_NS6_8equal_toIiEEEE10hipError_tPvRmT2_T3_mT4_T5_T6_T7_T8_P12ihipStream_tbENKUlT_T0_E_clISt17integral_constantIbLb1EES18_EEDaS13_S14_EUlS13_E_NS1_11comp_targetILNS1_3genE3ELNS1_11target_archE908ELNS1_3gpuE7ELNS1_3repE0EEENS1_30default_config_static_selectorELNS0_4arch9wavefront6targetE0EEEvT1_
    .private_segment_fixed_size: 0
    .sgpr_count:     0
    .sgpr_spill_count: 0
    .symbol:         _ZN7rocprim17ROCPRIM_400000_NS6detail17trampoline_kernelINS0_14default_configENS1_29reduce_by_key_config_selectorIiiN6thrust23THRUST_200600_302600_NS4plusIiEEEEZZNS1_33reduce_by_key_impl_wrapped_configILNS1_25lookback_scan_determinismE0ES3_S9_NS6_18transform_iteratorI25linear_index_to_row_indexIiENS6_17counting_iteratorIiNS6_11use_defaultESG_SG_EESG_SG_EENS6_6detail15normal_iteratorINS6_10device_ptrIiEEEESN_SN_PmS8_NS6_8equal_toIiEEEE10hipError_tPvRmT2_T3_mT4_T5_T6_T7_T8_P12ihipStream_tbENKUlT_T0_E_clISt17integral_constantIbLb1EES18_EEDaS13_S14_EUlS13_E_NS1_11comp_targetILNS1_3genE3ELNS1_11target_archE908ELNS1_3gpuE7ELNS1_3repE0EEENS1_30default_config_static_selectorELNS0_4arch9wavefront6targetE0EEEvT1_.kd
    .uniform_work_group_size: 1
    .uses_dynamic_stack: false
    .vgpr_count:     0
    .vgpr_spill_count: 0
    .wavefront_size: 32
    .workgroup_processor_mode: 1
  - .args:
      - .offset:         0
        .size:           120
        .value_kind:     by_value
    .group_segment_fixed_size: 0
    .kernarg_segment_align: 8
    .kernarg_segment_size: 120
    .language:       OpenCL C
    .language_version:
      - 2
      - 0
    .max_flat_workgroup_size: 256
    .name:           _ZN7rocprim17ROCPRIM_400000_NS6detail17trampoline_kernelINS0_14default_configENS1_29reduce_by_key_config_selectorIiiN6thrust23THRUST_200600_302600_NS4plusIiEEEEZZNS1_33reduce_by_key_impl_wrapped_configILNS1_25lookback_scan_determinismE0ES3_S9_NS6_18transform_iteratorI25linear_index_to_row_indexIiENS6_17counting_iteratorIiNS6_11use_defaultESG_SG_EESG_SG_EENS6_6detail15normal_iteratorINS6_10device_ptrIiEEEESN_SN_PmS8_NS6_8equal_toIiEEEE10hipError_tPvRmT2_T3_mT4_T5_T6_T7_T8_P12ihipStream_tbENKUlT_T0_E_clISt17integral_constantIbLb1EES18_EEDaS13_S14_EUlS13_E_NS1_11comp_targetILNS1_3genE2ELNS1_11target_archE906ELNS1_3gpuE6ELNS1_3repE0EEENS1_30default_config_static_selectorELNS0_4arch9wavefront6targetE0EEEvT1_
    .private_segment_fixed_size: 0
    .sgpr_count:     0
    .sgpr_spill_count: 0
    .symbol:         _ZN7rocprim17ROCPRIM_400000_NS6detail17trampoline_kernelINS0_14default_configENS1_29reduce_by_key_config_selectorIiiN6thrust23THRUST_200600_302600_NS4plusIiEEEEZZNS1_33reduce_by_key_impl_wrapped_configILNS1_25lookback_scan_determinismE0ES3_S9_NS6_18transform_iteratorI25linear_index_to_row_indexIiENS6_17counting_iteratorIiNS6_11use_defaultESG_SG_EESG_SG_EENS6_6detail15normal_iteratorINS6_10device_ptrIiEEEESN_SN_PmS8_NS6_8equal_toIiEEEE10hipError_tPvRmT2_T3_mT4_T5_T6_T7_T8_P12ihipStream_tbENKUlT_T0_E_clISt17integral_constantIbLb1EES18_EEDaS13_S14_EUlS13_E_NS1_11comp_targetILNS1_3genE2ELNS1_11target_archE906ELNS1_3gpuE6ELNS1_3repE0EEENS1_30default_config_static_selectorELNS0_4arch9wavefront6targetE0EEEvT1_.kd
    .uniform_work_group_size: 1
    .uses_dynamic_stack: false
    .vgpr_count:     0
    .vgpr_spill_count: 0
    .wavefront_size: 32
    .workgroup_processor_mode: 1
  - .args:
      - .offset:         0
        .size:           120
        .value_kind:     by_value
    .group_segment_fixed_size: 0
    .kernarg_segment_align: 8
    .kernarg_segment_size: 120
    .language:       OpenCL C
    .language_version:
      - 2
      - 0
    .max_flat_workgroup_size: 256
    .name:           _ZN7rocprim17ROCPRIM_400000_NS6detail17trampoline_kernelINS0_14default_configENS1_29reduce_by_key_config_selectorIiiN6thrust23THRUST_200600_302600_NS4plusIiEEEEZZNS1_33reduce_by_key_impl_wrapped_configILNS1_25lookback_scan_determinismE0ES3_S9_NS6_18transform_iteratorI25linear_index_to_row_indexIiENS6_17counting_iteratorIiNS6_11use_defaultESG_SG_EESG_SG_EENS6_6detail15normal_iteratorINS6_10device_ptrIiEEEESN_SN_PmS8_NS6_8equal_toIiEEEE10hipError_tPvRmT2_T3_mT4_T5_T6_T7_T8_P12ihipStream_tbENKUlT_T0_E_clISt17integral_constantIbLb1EES18_EEDaS13_S14_EUlS13_E_NS1_11comp_targetILNS1_3genE10ELNS1_11target_archE1201ELNS1_3gpuE5ELNS1_3repE0EEENS1_30default_config_static_selectorELNS0_4arch9wavefront6targetE0EEEvT1_
    .private_segment_fixed_size: 0
    .sgpr_count:     0
    .sgpr_spill_count: 0
    .symbol:         _ZN7rocprim17ROCPRIM_400000_NS6detail17trampoline_kernelINS0_14default_configENS1_29reduce_by_key_config_selectorIiiN6thrust23THRUST_200600_302600_NS4plusIiEEEEZZNS1_33reduce_by_key_impl_wrapped_configILNS1_25lookback_scan_determinismE0ES3_S9_NS6_18transform_iteratorI25linear_index_to_row_indexIiENS6_17counting_iteratorIiNS6_11use_defaultESG_SG_EESG_SG_EENS6_6detail15normal_iteratorINS6_10device_ptrIiEEEESN_SN_PmS8_NS6_8equal_toIiEEEE10hipError_tPvRmT2_T3_mT4_T5_T6_T7_T8_P12ihipStream_tbENKUlT_T0_E_clISt17integral_constantIbLb1EES18_EEDaS13_S14_EUlS13_E_NS1_11comp_targetILNS1_3genE10ELNS1_11target_archE1201ELNS1_3gpuE5ELNS1_3repE0EEENS1_30default_config_static_selectorELNS0_4arch9wavefront6targetE0EEEvT1_.kd
    .uniform_work_group_size: 1
    .uses_dynamic_stack: false
    .vgpr_count:     0
    .vgpr_spill_count: 0
    .wavefront_size: 32
    .workgroup_processor_mode: 1
  - .args:
      - .offset:         0
        .size:           120
        .value_kind:     by_value
    .group_segment_fixed_size: 0
    .kernarg_segment_align: 8
    .kernarg_segment_size: 120
    .language:       OpenCL C
    .language_version:
      - 2
      - 0
    .max_flat_workgroup_size: 256
    .name:           _ZN7rocprim17ROCPRIM_400000_NS6detail17trampoline_kernelINS0_14default_configENS1_29reduce_by_key_config_selectorIiiN6thrust23THRUST_200600_302600_NS4plusIiEEEEZZNS1_33reduce_by_key_impl_wrapped_configILNS1_25lookback_scan_determinismE0ES3_S9_NS6_18transform_iteratorI25linear_index_to_row_indexIiENS6_17counting_iteratorIiNS6_11use_defaultESG_SG_EESG_SG_EENS6_6detail15normal_iteratorINS6_10device_ptrIiEEEESN_SN_PmS8_NS6_8equal_toIiEEEE10hipError_tPvRmT2_T3_mT4_T5_T6_T7_T8_P12ihipStream_tbENKUlT_T0_E_clISt17integral_constantIbLb1EES18_EEDaS13_S14_EUlS13_E_NS1_11comp_targetILNS1_3genE10ELNS1_11target_archE1200ELNS1_3gpuE4ELNS1_3repE0EEENS1_30default_config_static_selectorELNS0_4arch9wavefront6targetE0EEEvT1_
    .private_segment_fixed_size: 0
    .sgpr_count:     0
    .sgpr_spill_count: 0
    .symbol:         _ZN7rocprim17ROCPRIM_400000_NS6detail17trampoline_kernelINS0_14default_configENS1_29reduce_by_key_config_selectorIiiN6thrust23THRUST_200600_302600_NS4plusIiEEEEZZNS1_33reduce_by_key_impl_wrapped_configILNS1_25lookback_scan_determinismE0ES3_S9_NS6_18transform_iteratorI25linear_index_to_row_indexIiENS6_17counting_iteratorIiNS6_11use_defaultESG_SG_EESG_SG_EENS6_6detail15normal_iteratorINS6_10device_ptrIiEEEESN_SN_PmS8_NS6_8equal_toIiEEEE10hipError_tPvRmT2_T3_mT4_T5_T6_T7_T8_P12ihipStream_tbENKUlT_T0_E_clISt17integral_constantIbLb1EES18_EEDaS13_S14_EUlS13_E_NS1_11comp_targetILNS1_3genE10ELNS1_11target_archE1200ELNS1_3gpuE4ELNS1_3repE0EEENS1_30default_config_static_selectorELNS0_4arch9wavefront6targetE0EEEvT1_.kd
    .uniform_work_group_size: 1
    .uses_dynamic_stack: false
    .vgpr_count:     0
    .vgpr_spill_count: 0
    .wavefront_size: 32
    .workgroup_processor_mode: 1
  - .args:
      - .offset:         0
        .size:           120
        .value_kind:     by_value
    .group_segment_fixed_size: 0
    .kernarg_segment_align: 8
    .kernarg_segment_size: 120
    .language:       OpenCL C
    .language_version:
      - 2
      - 0
    .max_flat_workgroup_size: 256
    .name:           _ZN7rocprim17ROCPRIM_400000_NS6detail17trampoline_kernelINS0_14default_configENS1_29reduce_by_key_config_selectorIiiN6thrust23THRUST_200600_302600_NS4plusIiEEEEZZNS1_33reduce_by_key_impl_wrapped_configILNS1_25lookback_scan_determinismE0ES3_S9_NS6_18transform_iteratorI25linear_index_to_row_indexIiENS6_17counting_iteratorIiNS6_11use_defaultESG_SG_EESG_SG_EENS6_6detail15normal_iteratorINS6_10device_ptrIiEEEESN_SN_PmS8_NS6_8equal_toIiEEEE10hipError_tPvRmT2_T3_mT4_T5_T6_T7_T8_P12ihipStream_tbENKUlT_T0_E_clISt17integral_constantIbLb1EES18_EEDaS13_S14_EUlS13_E_NS1_11comp_targetILNS1_3genE9ELNS1_11target_archE1100ELNS1_3gpuE3ELNS1_3repE0EEENS1_30default_config_static_selectorELNS0_4arch9wavefront6targetE0EEEvT1_
    .private_segment_fixed_size: 0
    .sgpr_count:     0
    .sgpr_spill_count: 0
    .symbol:         _ZN7rocprim17ROCPRIM_400000_NS6detail17trampoline_kernelINS0_14default_configENS1_29reduce_by_key_config_selectorIiiN6thrust23THRUST_200600_302600_NS4plusIiEEEEZZNS1_33reduce_by_key_impl_wrapped_configILNS1_25lookback_scan_determinismE0ES3_S9_NS6_18transform_iteratorI25linear_index_to_row_indexIiENS6_17counting_iteratorIiNS6_11use_defaultESG_SG_EESG_SG_EENS6_6detail15normal_iteratorINS6_10device_ptrIiEEEESN_SN_PmS8_NS6_8equal_toIiEEEE10hipError_tPvRmT2_T3_mT4_T5_T6_T7_T8_P12ihipStream_tbENKUlT_T0_E_clISt17integral_constantIbLb1EES18_EEDaS13_S14_EUlS13_E_NS1_11comp_targetILNS1_3genE9ELNS1_11target_archE1100ELNS1_3gpuE3ELNS1_3repE0EEENS1_30default_config_static_selectorELNS0_4arch9wavefront6targetE0EEEvT1_.kd
    .uniform_work_group_size: 1
    .uses_dynamic_stack: false
    .vgpr_count:     0
    .vgpr_spill_count: 0
    .wavefront_size: 32
    .workgroup_processor_mode: 1
  - .args:
      - .offset:         0
        .size:           120
        .value_kind:     by_value
    .group_segment_fixed_size: 0
    .kernarg_segment_align: 8
    .kernarg_segment_size: 120
    .language:       OpenCL C
    .language_version:
      - 2
      - 0
    .max_flat_workgroup_size: 256
    .name:           _ZN7rocprim17ROCPRIM_400000_NS6detail17trampoline_kernelINS0_14default_configENS1_29reduce_by_key_config_selectorIiiN6thrust23THRUST_200600_302600_NS4plusIiEEEEZZNS1_33reduce_by_key_impl_wrapped_configILNS1_25lookback_scan_determinismE0ES3_S9_NS6_18transform_iteratorI25linear_index_to_row_indexIiENS6_17counting_iteratorIiNS6_11use_defaultESG_SG_EESG_SG_EENS6_6detail15normal_iteratorINS6_10device_ptrIiEEEESN_SN_PmS8_NS6_8equal_toIiEEEE10hipError_tPvRmT2_T3_mT4_T5_T6_T7_T8_P12ihipStream_tbENKUlT_T0_E_clISt17integral_constantIbLb1EES18_EEDaS13_S14_EUlS13_E_NS1_11comp_targetILNS1_3genE8ELNS1_11target_archE1030ELNS1_3gpuE2ELNS1_3repE0EEENS1_30default_config_static_selectorELNS0_4arch9wavefront6targetE0EEEvT1_
    .private_segment_fixed_size: 0
    .sgpr_count:     0
    .sgpr_spill_count: 0
    .symbol:         _ZN7rocprim17ROCPRIM_400000_NS6detail17trampoline_kernelINS0_14default_configENS1_29reduce_by_key_config_selectorIiiN6thrust23THRUST_200600_302600_NS4plusIiEEEEZZNS1_33reduce_by_key_impl_wrapped_configILNS1_25lookback_scan_determinismE0ES3_S9_NS6_18transform_iteratorI25linear_index_to_row_indexIiENS6_17counting_iteratorIiNS6_11use_defaultESG_SG_EESG_SG_EENS6_6detail15normal_iteratorINS6_10device_ptrIiEEEESN_SN_PmS8_NS6_8equal_toIiEEEE10hipError_tPvRmT2_T3_mT4_T5_T6_T7_T8_P12ihipStream_tbENKUlT_T0_E_clISt17integral_constantIbLb1EES18_EEDaS13_S14_EUlS13_E_NS1_11comp_targetILNS1_3genE8ELNS1_11target_archE1030ELNS1_3gpuE2ELNS1_3repE0EEENS1_30default_config_static_selectorELNS0_4arch9wavefront6targetE0EEEvT1_.kd
    .uniform_work_group_size: 1
    .uses_dynamic_stack: false
    .vgpr_count:     0
    .vgpr_spill_count: 0
    .wavefront_size: 32
    .workgroup_processor_mode: 1
  - .args:
      - .address_space:  global
        .offset:         0
        .size:           8
        .value_kind:     global_buffer
      - .offset:         8
        .size:           4
        .value_kind:     by_value
      - .offset:         12
        .size:           1
        .value_kind:     by_value
      - .offset:         16
        .size:           4
        .value_kind:     by_value
      - .address_space:  global
        .offset:         24
        .size:           8
        .value_kind:     global_buffer
      - .address_space:  global
        .offset:         32
        .size:           8
        .value_kind:     global_buffer
      - .offset:         40
        .size:           1
        .value_kind:     by_value
      - .offset:         48
        .size:           4
        .value_kind:     hidden_block_count_x
      - .offset:         52
        .size:           4
        .value_kind:     hidden_block_count_y
      - .offset:         56
        .size:           4
        .value_kind:     hidden_block_count_z
      - .offset:         60
        .size:           2
        .value_kind:     hidden_group_size_x
      - .offset:         62
        .size:           2
        .value_kind:     hidden_group_size_y
      - .offset:         64
        .size:           2
        .value_kind:     hidden_group_size_z
      - .offset:         66
        .size:           2
        .value_kind:     hidden_remainder_x
      - .offset:         68
        .size:           2
        .value_kind:     hidden_remainder_y
      - .offset:         70
        .size:           2
        .value_kind:     hidden_remainder_z
      - .offset:         88
        .size:           8
        .value_kind:     hidden_global_offset_x
      - .offset:         96
        .size:           8
        .value_kind:     hidden_global_offset_y
      - .offset:         104
        .size:           8
        .value_kind:     hidden_global_offset_z
      - .offset:         112
        .size:           2
        .value_kind:     hidden_grid_dims
    .group_segment_fixed_size: 0
    .kernarg_segment_align: 8
    .kernarg_segment_size: 304
    .language:       OpenCL C
    .language_version:
      - 2
      - 0
    .max_flat_workgroup_size: 256
    .name:           _ZN7rocprim17ROCPRIM_400000_NS6detail25reduce_by_key_init_kernelINS1_19lookback_scan_stateINS0_5tupleIJjiEEELb1ELb1EEEiNS1_16block_id_wrapperIjLb0EEEEEvT_jbjPmPT0_T1_
    .private_segment_fixed_size: 0
    .sgpr_count:     18
    .sgpr_spill_count: 0
    .symbol:         _ZN7rocprim17ROCPRIM_400000_NS6detail25reduce_by_key_init_kernelINS1_19lookback_scan_stateINS0_5tupleIJjiEEELb1ELb1EEEiNS1_16block_id_wrapperIjLb0EEEEEvT_jbjPmPT0_T1_.kd
    .uniform_work_group_size: 1
    .uses_dynamic_stack: false
    .vgpr_count:     8
    .vgpr_spill_count: 0
    .wavefront_size: 32
    .workgroup_processor_mode: 1
  - .args:
      - .offset:         0
        .size:           120
        .value_kind:     by_value
    .group_segment_fixed_size: 0
    .kernarg_segment_align: 8
    .kernarg_segment_size: 120
    .language:       OpenCL C
    .language_version:
      - 2
      - 0
    .max_flat_workgroup_size: 256
    .name:           _ZN7rocprim17ROCPRIM_400000_NS6detail17trampoline_kernelINS0_14default_configENS1_29reduce_by_key_config_selectorIiiN6thrust23THRUST_200600_302600_NS4plusIiEEEEZZNS1_33reduce_by_key_impl_wrapped_configILNS1_25lookback_scan_determinismE0ES3_S9_NS6_18transform_iteratorI25linear_index_to_row_indexIiENS6_17counting_iteratorIiNS6_11use_defaultESG_SG_EESG_SG_EENS6_6detail15normal_iteratorINS6_10device_ptrIiEEEESN_SN_PmS8_NS6_8equal_toIiEEEE10hipError_tPvRmT2_T3_mT4_T5_T6_T7_T8_P12ihipStream_tbENKUlT_T0_E_clISt17integral_constantIbLb1EES17_IbLb0EEEEDaS13_S14_EUlS13_E_NS1_11comp_targetILNS1_3genE0ELNS1_11target_archE4294967295ELNS1_3gpuE0ELNS1_3repE0EEENS1_30default_config_static_selectorELNS0_4arch9wavefront6targetE0EEEvT1_
    .private_segment_fixed_size: 0
    .sgpr_count:     0
    .sgpr_spill_count: 0
    .symbol:         _ZN7rocprim17ROCPRIM_400000_NS6detail17trampoline_kernelINS0_14default_configENS1_29reduce_by_key_config_selectorIiiN6thrust23THRUST_200600_302600_NS4plusIiEEEEZZNS1_33reduce_by_key_impl_wrapped_configILNS1_25lookback_scan_determinismE0ES3_S9_NS6_18transform_iteratorI25linear_index_to_row_indexIiENS6_17counting_iteratorIiNS6_11use_defaultESG_SG_EESG_SG_EENS6_6detail15normal_iteratorINS6_10device_ptrIiEEEESN_SN_PmS8_NS6_8equal_toIiEEEE10hipError_tPvRmT2_T3_mT4_T5_T6_T7_T8_P12ihipStream_tbENKUlT_T0_E_clISt17integral_constantIbLb1EES17_IbLb0EEEEDaS13_S14_EUlS13_E_NS1_11comp_targetILNS1_3genE0ELNS1_11target_archE4294967295ELNS1_3gpuE0ELNS1_3repE0EEENS1_30default_config_static_selectorELNS0_4arch9wavefront6targetE0EEEvT1_.kd
    .uniform_work_group_size: 1
    .uses_dynamic_stack: false
    .vgpr_count:     0
    .vgpr_spill_count: 0
    .wavefront_size: 32
    .workgroup_processor_mode: 1
  - .args:
      - .offset:         0
        .size:           120
        .value_kind:     by_value
    .group_segment_fixed_size: 0
    .kernarg_segment_align: 8
    .kernarg_segment_size: 120
    .language:       OpenCL C
    .language_version:
      - 2
      - 0
    .max_flat_workgroup_size: 256
    .name:           _ZN7rocprim17ROCPRIM_400000_NS6detail17trampoline_kernelINS0_14default_configENS1_29reduce_by_key_config_selectorIiiN6thrust23THRUST_200600_302600_NS4plusIiEEEEZZNS1_33reduce_by_key_impl_wrapped_configILNS1_25lookback_scan_determinismE0ES3_S9_NS6_18transform_iteratorI25linear_index_to_row_indexIiENS6_17counting_iteratorIiNS6_11use_defaultESG_SG_EESG_SG_EENS6_6detail15normal_iteratorINS6_10device_ptrIiEEEESN_SN_PmS8_NS6_8equal_toIiEEEE10hipError_tPvRmT2_T3_mT4_T5_T6_T7_T8_P12ihipStream_tbENKUlT_T0_E_clISt17integral_constantIbLb1EES17_IbLb0EEEEDaS13_S14_EUlS13_E_NS1_11comp_targetILNS1_3genE5ELNS1_11target_archE942ELNS1_3gpuE9ELNS1_3repE0EEENS1_30default_config_static_selectorELNS0_4arch9wavefront6targetE0EEEvT1_
    .private_segment_fixed_size: 0
    .sgpr_count:     0
    .sgpr_spill_count: 0
    .symbol:         _ZN7rocprim17ROCPRIM_400000_NS6detail17trampoline_kernelINS0_14default_configENS1_29reduce_by_key_config_selectorIiiN6thrust23THRUST_200600_302600_NS4plusIiEEEEZZNS1_33reduce_by_key_impl_wrapped_configILNS1_25lookback_scan_determinismE0ES3_S9_NS6_18transform_iteratorI25linear_index_to_row_indexIiENS6_17counting_iteratorIiNS6_11use_defaultESG_SG_EESG_SG_EENS6_6detail15normal_iteratorINS6_10device_ptrIiEEEESN_SN_PmS8_NS6_8equal_toIiEEEE10hipError_tPvRmT2_T3_mT4_T5_T6_T7_T8_P12ihipStream_tbENKUlT_T0_E_clISt17integral_constantIbLb1EES17_IbLb0EEEEDaS13_S14_EUlS13_E_NS1_11comp_targetILNS1_3genE5ELNS1_11target_archE942ELNS1_3gpuE9ELNS1_3repE0EEENS1_30default_config_static_selectorELNS0_4arch9wavefront6targetE0EEEvT1_.kd
    .uniform_work_group_size: 1
    .uses_dynamic_stack: false
    .vgpr_count:     0
    .vgpr_spill_count: 0
    .wavefront_size: 32
    .workgroup_processor_mode: 1
  - .args:
      - .offset:         0
        .size:           120
        .value_kind:     by_value
    .group_segment_fixed_size: 0
    .kernarg_segment_align: 8
    .kernarg_segment_size: 120
    .language:       OpenCL C
    .language_version:
      - 2
      - 0
    .max_flat_workgroup_size: 256
    .name:           _ZN7rocprim17ROCPRIM_400000_NS6detail17trampoline_kernelINS0_14default_configENS1_29reduce_by_key_config_selectorIiiN6thrust23THRUST_200600_302600_NS4plusIiEEEEZZNS1_33reduce_by_key_impl_wrapped_configILNS1_25lookback_scan_determinismE0ES3_S9_NS6_18transform_iteratorI25linear_index_to_row_indexIiENS6_17counting_iteratorIiNS6_11use_defaultESG_SG_EESG_SG_EENS6_6detail15normal_iteratorINS6_10device_ptrIiEEEESN_SN_PmS8_NS6_8equal_toIiEEEE10hipError_tPvRmT2_T3_mT4_T5_T6_T7_T8_P12ihipStream_tbENKUlT_T0_E_clISt17integral_constantIbLb1EES17_IbLb0EEEEDaS13_S14_EUlS13_E_NS1_11comp_targetILNS1_3genE4ELNS1_11target_archE910ELNS1_3gpuE8ELNS1_3repE0EEENS1_30default_config_static_selectorELNS0_4arch9wavefront6targetE0EEEvT1_
    .private_segment_fixed_size: 0
    .sgpr_count:     0
    .sgpr_spill_count: 0
    .symbol:         _ZN7rocprim17ROCPRIM_400000_NS6detail17trampoline_kernelINS0_14default_configENS1_29reduce_by_key_config_selectorIiiN6thrust23THRUST_200600_302600_NS4plusIiEEEEZZNS1_33reduce_by_key_impl_wrapped_configILNS1_25lookback_scan_determinismE0ES3_S9_NS6_18transform_iteratorI25linear_index_to_row_indexIiENS6_17counting_iteratorIiNS6_11use_defaultESG_SG_EESG_SG_EENS6_6detail15normal_iteratorINS6_10device_ptrIiEEEESN_SN_PmS8_NS6_8equal_toIiEEEE10hipError_tPvRmT2_T3_mT4_T5_T6_T7_T8_P12ihipStream_tbENKUlT_T0_E_clISt17integral_constantIbLb1EES17_IbLb0EEEEDaS13_S14_EUlS13_E_NS1_11comp_targetILNS1_3genE4ELNS1_11target_archE910ELNS1_3gpuE8ELNS1_3repE0EEENS1_30default_config_static_selectorELNS0_4arch9wavefront6targetE0EEEvT1_.kd
    .uniform_work_group_size: 1
    .uses_dynamic_stack: false
    .vgpr_count:     0
    .vgpr_spill_count: 0
    .wavefront_size: 32
    .workgroup_processor_mode: 1
  - .args:
      - .offset:         0
        .size:           120
        .value_kind:     by_value
    .group_segment_fixed_size: 0
    .kernarg_segment_align: 8
    .kernarg_segment_size: 120
    .language:       OpenCL C
    .language_version:
      - 2
      - 0
    .max_flat_workgroup_size: 256
    .name:           _ZN7rocprim17ROCPRIM_400000_NS6detail17trampoline_kernelINS0_14default_configENS1_29reduce_by_key_config_selectorIiiN6thrust23THRUST_200600_302600_NS4plusIiEEEEZZNS1_33reduce_by_key_impl_wrapped_configILNS1_25lookback_scan_determinismE0ES3_S9_NS6_18transform_iteratorI25linear_index_to_row_indexIiENS6_17counting_iteratorIiNS6_11use_defaultESG_SG_EESG_SG_EENS6_6detail15normal_iteratorINS6_10device_ptrIiEEEESN_SN_PmS8_NS6_8equal_toIiEEEE10hipError_tPvRmT2_T3_mT4_T5_T6_T7_T8_P12ihipStream_tbENKUlT_T0_E_clISt17integral_constantIbLb1EES17_IbLb0EEEEDaS13_S14_EUlS13_E_NS1_11comp_targetILNS1_3genE3ELNS1_11target_archE908ELNS1_3gpuE7ELNS1_3repE0EEENS1_30default_config_static_selectorELNS0_4arch9wavefront6targetE0EEEvT1_
    .private_segment_fixed_size: 0
    .sgpr_count:     0
    .sgpr_spill_count: 0
    .symbol:         _ZN7rocprim17ROCPRIM_400000_NS6detail17trampoline_kernelINS0_14default_configENS1_29reduce_by_key_config_selectorIiiN6thrust23THRUST_200600_302600_NS4plusIiEEEEZZNS1_33reduce_by_key_impl_wrapped_configILNS1_25lookback_scan_determinismE0ES3_S9_NS6_18transform_iteratorI25linear_index_to_row_indexIiENS6_17counting_iteratorIiNS6_11use_defaultESG_SG_EESG_SG_EENS6_6detail15normal_iteratorINS6_10device_ptrIiEEEESN_SN_PmS8_NS6_8equal_toIiEEEE10hipError_tPvRmT2_T3_mT4_T5_T6_T7_T8_P12ihipStream_tbENKUlT_T0_E_clISt17integral_constantIbLb1EES17_IbLb0EEEEDaS13_S14_EUlS13_E_NS1_11comp_targetILNS1_3genE3ELNS1_11target_archE908ELNS1_3gpuE7ELNS1_3repE0EEENS1_30default_config_static_selectorELNS0_4arch9wavefront6targetE0EEEvT1_.kd
    .uniform_work_group_size: 1
    .uses_dynamic_stack: false
    .vgpr_count:     0
    .vgpr_spill_count: 0
    .wavefront_size: 32
    .workgroup_processor_mode: 1
  - .args:
      - .offset:         0
        .size:           120
        .value_kind:     by_value
    .group_segment_fixed_size: 0
    .kernarg_segment_align: 8
    .kernarg_segment_size: 120
    .language:       OpenCL C
    .language_version:
      - 2
      - 0
    .max_flat_workgroup_size: 256
    .name:           _ZN7rocprim17ROCPRIM_400000_NS6detail17trampoline_kernelINS0_14default_configENS1_29reduce_by_key_config_selectorIiiN6thrust23THRUST_200600_302600_NS4plusIiEEEEZZNS1_33reduce_by_key_impl_wrapped_configILNS1_25lookback_scan_determinismE0ES3_S9_NS6_18transform_iteratorI25linear_index_to_row_indexIiENS6_17counting_iteratorIiNS6_11use_defaultESG_SG_EESG_SG_EENS6_6detail15normal_iteratorINS6_10device_ptrIiEEEESN_SN_PmS8_NS6_8equal_toIiEEEE10hipError_tPvRmT2_T3_mT4_T5_T6_T7_T8_P12ihipStream_tbENKUlT_T0_E_clISt17integral_constantIbLb1EES17_IbLb0EEEEDaS13_S14_EUlS13_E_NS1_11comp_targetILNS1_3genE2ELNS1_11target_archE906ELNS1_3gpuE6ELNS1_3repE0EEENS1_30default_config_static_selectorELNS0_4arch9wavefront6targetE0EEEvT1_
    .private_segment_fixed_size: 0
    .sgpr_count:     0
    .sgpr_spill_count: 0
    .symbol:         _ZN7rocprim17ROCPRIM_400000_NS6detail17trampoline_kernelINS0_14default_configENS1_29reduce_by_key_config_selectorIiiN6thrust23THRUST_200600_302600_NS4plusIiEEEEZZNS1_33reduce_by_key_impl_wrapped_configILNS1_25lookback_scan_determinismE0ES3_S9_NS6_18transform_iteratorI25linear_index_to_row_indexIiENS6_17counting_iteratorIiNS6_11use_defaultESG_SG_EESG_SG_EENS6_6detail15normal_iteratorINS6_10device_ptrIiEEEESN_SN_PmS8_NS6_8equal_toIiEEEE10hipError_tPvRmT2_T3_mT4_T5_T6_T7_T8_P12ihipStream_tbENKUlT_T0_E_clISt17integral_constantIbLb1EES17_IbLb0EEEEDaS13_S14_EUlS13_E_NS1_11comp_targetILNS1_3genE2ELNS1_11target_archE906ELNS1_3gpuE6ELNS1_3repE0EEENS1_30default_config_static_selectorELNS0_4arch9wavefront6targetE0EEEvT1_.kd
    .uniform_work_group_size: 1
    .uses_dynamic_stack: false
    .vgpr_count:     0
    .vgpr_spill_count: 0
    .wavefront_size: 32
    .workgroup_processor_mode: 1
  - .args:
      - .offset:         0
        .size:           120
        .value_kind:     by_value
    .group_segment_fixed_size: 0
    .kernarg_segment_align: 8
    .kernarg_segment_size: 120
    .language:       OpenCL C
    .language_version:
      - 2
      - 0
    .max_flat_workgroup_size: 256
    .name:           _ZN7rocprim17ROCPRIM_400000_NS6detail17trampoline_kernelINS0_14default_configENS1_29reduce_by_key_config_selectorIiiN6thrust23THRUST_200600_302600_NS4plusIiEEEEZZNS1_33reduce_by_key_impl_wrapped_configILNS1_25lookback_scan_determinismE0ES3_S9_NS6_18transform_iteratorI25linear_index_to_row_indexIiENS6_17counting_iteratorIiNS6_11use_defaultESG_SG_EESG_SG_EENS6_6detail15normal_iteratorINS6_10device_ptrIiEEEESN_SN_PmS8_NS6_8equal_toIiEEEE10hipError_tPvRmT2_T3_mT4_T5_T6_T7_T8_P12ihipStream_tbENKUlT_T0_E_clISt17integral_constantIbLb1EES17_IbLb0EEEEDaS13_S14_EUlS13_E_NS1_11comp_targetILNS1_3genE10ELNS1_11target_archE1201ELNS1_3gpuE5ELNS1_3repE0EEENS1_30default_config_static_selectorELNS0_4arch9wavefront6targetE0EEEvT1_
    .private_segment_fixed_size: 0
    .sgpr_count:     0
    .sgpr_spill_count: 0
    .symbol:         _ZN7rocprim17ROCPRIM_400000_NS6detail17trampoline_kernelINS0_14default_configENS1_29reduce_by_key_config_selectorIiiN6thrust23THRUST_200600_302600_NS4plusIiEEEEZZNS1_33reduce_by_key_impl_wrapped_configILNS1_25lookback_scan_determinismE0ES3_S9_NS6_18transform_iteratorI25linear_index_to_row_indexIiENS6_17counting_iteratorIiNS6_11use_defaultESG_SG_EESG_SG_EENS6_6detail15normal_iteratorINS6_10device_ptrIiEEEESN_SN_PmS8_NS6_8equal_toIiEEEE10hipError_tPvRmT2_T3_mT4_T5_T6_T7_T8_P12ihipStream_tbENKUlT_T0_E_clISt17integral_constantIbLb1EES17_IbLb0EEEEDaS13_S14_EUlS13_E_NS1_11comp_targetILNS1_3genE10ELNS1_11target_archE1201ELNS1_3gpuE5ELNS1_3repE0EEENS1_30default_config_static_selectorELNS0_4arch9wavefront6targetE0EEEvT1_.kd
    .uniform_work_group_size: 1
    .uses_dynamic_stack: false
    .vgpr_count:     0
    .vgpr_spill_count: 0
    .wavefront_size: 32
    .workgroup_processor_mode: 1
  - .args:
      - .offset:         0
        .size:           120
        .value_kind:     by_value
    .group_segment_fixed_size: 0
    .kernarg_segment_align: 8
    .kernarg_segment_size: 120
    .language:       OpenCL C
    .language_version:
      - 2
      - 0
    .max_flat_workgroup_size: 256
    .name:           _ZN7rocprim17ROCPRIM_400000_NS6detail17trampoline_kernelINS0_14default_configENS1_29reduce_by_key_config_selectorIiiN6thrust23THRUST_200600_302600_NS4plusIiEEEEZZNS1_33reduce_by_key_impl_wrapped_configILNS1_25lookback_scan_determinismE0ES3_S9_NS6_18transform_iteratorI25linear_index_to_row_indexIiENS6_17counting_iteratorIiNS6_11use_defaultESG_SG_EESG_SG_EENS6_6detail15normal_iteratorINS6_10device_ptrIiEEEESN_SN_PmS8_NS6_8equal_toIiEEEE10hipError_tPvRmT2_T3_mT4_T5_T6_T7_T8_P12ihipStream_tbENKUlT_T0_E_clISt17integral_constantIbLb1EES17_IbLb0EEEEDaS13_S14_EUlS13_E_NS1_11comp_targetILNS1_3genE10ELNS1_11target_archE1200ELNS1_3gpuE4ELNS1_3repE0EEENS1_30default_config_static_selectorELNS0_4arch9wavefront6targetE0EEEvT1_
    .private_segment_fixed_size: 0
    .sgpr_count:     0
    .sgpr_spill_count: 0
    .symbol:         _ZN7rocprim17ROCPRIM_400000_NS6detail17trampoline_kernelINS0_14default_configENS1_29reduce_by_key_config_selectorIiiN6thrust23THRUST_200600_302600_NS4plusIiEEEEZZNS1_33reduce_by_key_impl_wrapped_configILNS1_25lookback_scan_determinismE0ES3_S9_NS6_18transform_iteratorI25linear_index_to_row_indexIiENS6_17counting_iteratorIiNS6_11use_defaultESG_SG_EESG_SG_EENS6_6detail15normal_iteratorINS6_10device_ptrIiEEEESN_SN_PmS8_NS6_8equal_toIiEEEE10hipError_tPvRmT2_T3_mT4_T5_T6_T7_T8_P12ihipStream_tbENKUlT_T0_E_clISt17integral_constantIbLb1EES17_IbLb0EEEEDaS13_S14_EUlS13_E_NS1_11comp_targetILNS1_3genE10ELNS1_11target_archE1200ELNS1_3gpuE4ELNS1_3repE0EEENS1_30default_config_static_selectorELNS0_4arch9wavefront6targetE0EEEvT1_.kd
    .uniform_work_group_size: 1
    .uses_dynamic_stack: false
    .vgpr_count:     0
    .vgpr_spill_count: 0
    .wavefront_size: 32
    .workgroup_processor_mode: 1
  - .args:
      - .offset:         0
        .size:           120
        .value_kind:     by_value
    .group_segment_fixed_size: 0
    .kernarg_segment_align: 8
    .kernarg_segment_size: 120
    .language:       OpenCL C
    .language_version:
      - 2
      - 0
    .max_flat_workgroup_size: 256
    .name:           _ZN7rocprim17ROCPRIM_400000_NS6detail17trampoline_kernelINS0_14default_configENS1_29reduce_by_key_config_selectorIiiN6thrust23THRUST_200600_302600_NS4plusIiEEEEZZNS1_33reduce_by_key_impl_wrapped_configILNS1_25lookback_scan_determinismE0ES3_S9_NS6_18transform_iteratorI25linear_index_to_row_indexIiENS6_17counting_iteratorIiNS6_11use_defaultESG_SG_EESG_SG_EENS6_6detail15normal_iteratorINS6_10device_ptrIiEEEESN_SN_PmS8_NS6_8equal_toIiEEEE10hipError_tPvRmT2_T3_mT4_T5_T6_T7_T8_P12ihipStream_tbENKUlT_T0_E_clISt17integral_constantIbLb1EES17_IbLb0EEEEDaS13_S14_EUlS13_E_NS1_11comp_targetILNS1_3genE9ELNS1_11target_archE1100ELNS1_3gpuE3ELNS1_3repE0EEENS1_30default_config_static_selectorELNS0_4arch9wavefront6targetE0EEEvT1_
    .private_segment_fixed_size: 0
    .sgpr_count:     0
    .sgpr_spill_count: 0
    .symbol:         _ZN7rocprim17ROCPRIM_400000_NS6detail17trampoline_kernelINS0_14default_configENS1_29reduce_by_key_config_selectorIiiN6thrust23THRUST_200600_302600_NS4plusIiEEEEZZNS1_33reduce_by_key_impl_wrapped_configILNS1_25lookback_scan_determinismE0ES3_S9_NS6_18transform_iteratorI25linear_index_to_row_indexIiENS6_17counting_iteratorIiNS6_11use_defaultESG_SG_EESG_SG_EENS6_6detail15normal_iteratorINS6_10device_ptrIiEEEESN_SN_PmS8_NS6_8equal_toIiEEEE10hipError_tPvRmT2_T3_mT4_T5_T6_T7_T8_P12ihipStream_tbENKUlT_T0_E_clISt17integral_constantIbLb1EES17_IbLb0EEEEDaS13_S14_EUlS13_E_NS1_11comp_targetILNS1_3genE9ELNS1_11target_archE1100ELNS1_3gpuE3ELNS1_3repE0EEENS1_30default_config_static_selectorELNS0_4arch9wavefront6targetE0EEEvT1_.kd
    .uniform_work_group_size: 1
    .uses_dynamic_stack: false
    .vgpr_count:     0
    .vgpr_spill_count: 0
    .wavefront_size: 32
    .workgroup_processor_mode: 1
  - .args:
      - .offset:         0
        .size:           120
        .value_kind:     by_value
    .group_segment_fixed_size: 0
    .kernarg_segment_align: 8
    .kernarg_segment_size: 120
    .language:       OpenCL C
    .language_version:
      - 2
      - 0
    .max_flat_workgroup_size: 256
    .name:           _ZN7rocprim17ROCPRIM_400000_NS6detail17trampoline_kernelINS0_14default_configENS1_29reduce_by_key_config_selectorIiiN6thrust23THRUST_200600_302600_NS4plusIiEEEEZZNS1_33reduce_by_key_impl_wrapped_configILNS1_25lookback_scan_determinismE0ES3_S9_NS6_18transform_iteratorI25linear_index_to_row_indexIiENS6_17counting_iteratorIiNS6_11use_defaultESG_SG_EESG_SG_EENS6_6detail15normal_iteratorINS6_10device_ptrIiEEEESN_SN_PmS8_NS6_8equal_toIiEEEE10hipError_tPvRmT2_T3_mT4_T5_T6_T7_T8_P12ihipStream_tbENKUlT_T0_E_clISt17integral_constantIbLb1EES17_IbLb0EEEEDaS13_S14_EUlS13_E_NS1_11comp_targetILNS1_3genE8ELNS1_11target_archE1030ELNS1_3gpuE2ELNS1_3repE0EEENS1_30default_config_static_selectorELNS0_4arch9wavefront6targetE0EEEvT1_
    .private_segment_fixed_size: 0
    .sgpr_count:     0
    .sgpr_spill_count: 0
    .symbol:         _ZN7rocprim17ROCPRIM_400000_NS6detail17trampoline_kernelINS0_14default_configENS1_29reduce_by_key_config_selectorIiiN6thrust23THRUST_200600_302600_NS4plusIiEEEEZZNS1_33reduce_by_key_impl_wrapped_configILNS1_25lookback_scan_determinismE0ES3_S9_NS6_18transform_iteratorI25linear_index_to_row_indexIiENS6_17counting_iteratorIiNS6_11use_defaultESG_SG_EESG_SG_EENS6_6detail15normal_iteratorINS6_10device_ptrIiEEEESN_SN_PmS8_NS6_8equal_toIiEEEE10hipError_tPvRmT2_T3_mT4_T5_T6_T7_T8_P12ihipStream_tbENKUlT_T0_E_clISt17integral_constantIbLb1EES17_IbLb0EEEEDaS13_S14_EUlS13_E_NS1_11comp_targetILNS1_3genE8ELNS1_11target_archE1030ELNS1_3gpuE2ELNS1_3repE0EEENS1_30default_config_static_selectorELNS0_4arch9wavefront6targetE0EEEvT1_.kd
    .uniform_work_group_size: 1
    .uses_dynamic_stack: false
    .vgpr_count:     0
    .vgpr_spill_count: 0
    .wavefront_size: 32
    .workgroup_processor_mode: 1
  - .args:
      - .address_space:  global
        .offset:         0
        .size:           8
        .value_kind:     global_buffer
      - .offset:         8
        .size:           4
        .value_kind:     by_value
      - .offset:         12
        .size:           1
        .value_kind:     by_value
      - .offset:         16
        .size:           4
        .value_kind:     by_value
      - .address_space:  global
        .offset:         24
        .size:           8
        .value_kind:     global_buffer
      - .address_space:  global
        .offset:         32
        .size:           8
        .value_kind:     global_buffer
      - .address_space:  global
        .offset:         40
        .size:           8
        .value_kind:     global_buffer
      - .offset:         48
        .size:           4
        .value_kind:     hidden_block_count_x
      - .offset:         52
        .size:           4
        .value_kind:     hidden_block_count_y
      - .offset:         56
        .size:           4
        .value_kind:     hidden_block_count_z
      - .offset:         60
        .size:           2
        .value_kind:     hidden_group_size_x
      - .offset:         62
        .size:           2
        .value_kind:     hidden_group_size_y
      - .offset:         64
        .size:           2
        .value_kind:     hidden_group_size_z
      - .offset:         66
        .size:           2
        .value_kind:     hidden_remainder_x
      - .offset:         68
        .size:           2
        .value_kind:     hidden_remainder_y
      - .offset:         70
        .size:           2
        .value_kind:     hidden_remainder_z
      - .offset:         88
        .size:           8
        .value_kind:     hidden_global_offset_x
      - .offset:         96
        .size:           8
        .value_kind:     hidden_global_offset_y
      - .offset:         104
        .size:           8
        .value_kind:     hidden_global_offset_z
      - .offset:         112
        .size:           2
        .value_kind:     hidden_grid_dims
    .group_segment_fixed_size: 0
    .kernarg_segment_align: 8
    .kernarg_segment_size: 304
    .language:       OpenCL C
    .language_version:
      - 2
      - 0
    .max_flat_workgroup_size: 256
    .name:           _ZN7rocprim17ROCPRIM_400000_NS6detail25reduce_by_key_init_kernelINS1_19lookback_scan_stateINS0_5tupleIJjiEEELb0ELb1EEEiNS1_16block_id_wrapperIjLb1EEEEEvT_jbjPmPT0_T1_
    .private_segment_fixed_size: 0
    .sgpr_count:     20
    .sgpr_spill_count: 0
    .symbol:         _ZN7rocprim17ROCPRIM_400000_NS6detail25reduce_by_key_init_kernelINS1_19lookback_scan_stateINS0_5tupleIJjiEEELb0ELb1EEEiNS1_16block_id_wrapperIjLb1EEEEEvT_jbjPmPT0_T1_.kd
    .uniform_work_group_size: 1
    .uses_dynamic_stack: false
    .vgpr_count:     8
    .vgpr_spill_count: 0
    .wavefront_size: 32
    .workgroup_processor_mode: 1
  - .args:
      - .offset:         0
        .size:           120
        .value_kind:     by_value
    .group_segment_fixed_size: 0
    .kernarg_segment_align: 8
    .kernarg_segment_size: 120
    .language:       OpenCL C
    .language_version:
      - 2
      - 0
    .max_flat_workgroup_size: 256
    .name:           _ZN7rocprim17ROCPRIM_400000_NS6detail17trampoline_kernelINS0_14default_configENS1_29reduce_by_key_config_selectorIiiN6thrust23THRUST_200600_302600_NS4plusIiEEEEZZNS1_33reduce_by_key_impl_wrapped_configILNS1_25lookback_scan_determinismE0ES3_S9_NS6_18transform_iteratorI25linear_index_to_row_indexIiENS6_17counting_iteratorIiNS6_11use_defaultESG_SG_EESG_SG_EENS6_6detail15normal_iteratorINS6_10device_ptrIiEEEESN_SN_PmS8_NS6_8equal_toIiEEEE10hipError_tPvRmT2_T3_mT4_T5_T6_T7_T8_P12ihipStream_tbENKUlT_T0_E_clISt17integral_constantIbLb0EES17_IbLb1EEEEDaS13_S14_EUlS13_E_NS1_11comp_targetILNS1_3genE0ELNS1_11target_archE4294967295ELNS1_3gpuE0ELNS1_3repE0EEENS1_30default_config_static_selectorELNS0_4arch9wavefront6targetE0EEEvT1_
    .private_segment_fixed_size: 0
    .sgpr_count:     0
    .sgpr_spill_count: 0
    .symbol:         _ZN7rocprim17ROCPRIM_400000_NS6detail17trampoline_kernelINS0_14default_configENS1_29reduce_by_key_config_selectorIiiN6thrust23THRUST_200600_302600_NS4plusIiEEEEZZNS1_33reduce_by_key_impl_wrapped_configILNS1_25lookback_scan_determinismE0ES3_S9_NS6_18transform_iteratorI25linear_index_to_row_indexIiENS6_17counting_iteratorIiNS6_11use_defaultESG_SG_EESG_SG_EENS6_6detail15normal_iteratorINS6_10device_ptrIiEEEESN_SN_PmS8_NS6_8equal_toIiEEEE10hipError_tPvRmT2_T3_mT4_T5_T6_T7_T8_P12ihipStream_tbENKUlT_T0_E_clISt17integral_constantIbLb0EES17_IbLb1EEEEDaS13_S14_EUlS13_E_NS1_11comp_targetILNS1_3genE0ELNS1_11target_archE4294967295ELNS1_3gpuE0ELNS1_3repE0EEENS1_30default_config_static_selectorELNS0_4arch9wavefront6targetE0EEEvT1_.kd
    .uniform_work_group_size: 1
    .uses_dynamic_stack: false
    .vgpr_count:     0
    .vgpr_spill_count: 0
    .wavefront_size: 32
    .workgroup_processor_mode: 1
  - .args:
      - .offset:         0
        .size:           120
        .value_kind:     by_value
    .group_segment_fixed_size: 0
    .kernarg_segment_align: 8
    .kernarg_segment_size: 120
    .language:       OpenCL C
    .language_version:
      - 2
      - 0
    .max_flat_workgroup_size: 256
    .name:           _ZN7rocprim17ROCPRIM_400000_NS6detail17trampoline_kernelINS0_14default_configENS1_29reduce_by_key_config_selectorIiiN6thrust23THRUST_200600_302600_NS4plusIiEEEEZZNS1_33reduce_by_key_impl_wrapped_configILNS1_25lookback_scan_determinismE0ES3_S9_NS6_18transform_iteratorI25linear_index_to_row_indexIiENS6_17counting_iteratorIiNS6_11use_defaultESG_SG_EESG_SG_EENS6_6detail15normal_iteratorINS6_10device_ptrIiEEEESN_SN_PmS8_NS6_8equal_toIiEEEE10hipError_tPvRmT2_T3_mT4_T5_T6_T7_T8_P12ihipStream_tbENKUlT_T0_E_clISt17integral_constantIbLb0EES17_IbLb1EEEEDaS13_S14_EUlS13_E_NS1_11comp_targetILNS1_3genE5ELNS1_11target_archE942ELNS1_3gpuE9ELNS1_3repE0EEENS1_30default_config_static_selectorELNS0_4arch9wavefront6targetE0EEEvT1_
    .private_segment_fixed_size: 0
    .sgpr_count:     0
    .sgpr_spill_count: 0
    .symbol:         _ZN7rocprim17ROCPRIM_400000_NS6detail17trampoline_kernelINS0_14default_configENS1_29reduce_by_key_config_selectorIiiN6thrust23THRUST_200600_302600_NS4plusIiEEEEZZNS1_33reduce_by_key_impl_wrapped_configILNS1_25lookback_scan_determinismE0ES3_S9_NS6_18transform_iteratorI25linear_index_to_row_indexIiENS6_17counting_iteratorIiNS6_11use_defaultESG_SG_EESG_SG_EENS6_6detail15normal_iteratorINS6_10device_ptrIiEEEESN_SN_PmS8_NS6_8equal_toIiEEEE10hipError_tPvRmT2_T3_mT4_T5_T6_T7_T8_P12ihipStream_tbENKUlT_T0_E_clISt17integral_constantIbLb0EES17_IbLb1EEEEDaS13_S14_EUlS13_E_NS1_11comp_targetILNS1_3genE5ELNS1_11target_archE942ELNS1_3gpuE9ELNS1_3repE0EEENS1_30default_config_static_selectorELNS0_4arch9wavefront6targetE0EEEvT1_.kd
    .uniform_work_group_size: 1
    .uses_dynamic_stack: false
    .vgpr_count:     0
    .vgpr_spill_count: 0
    .wavefront_size: 32
    .workgroup_processor_mode: 1
  - .args:
      - .offset:         0
        .size:           120
        .value_kind:     by_value
    .group_segment_fixed_size: 0
    .kernarg_segment_align: 8
    .kernarg_segment_size: 120
    .language:       OpenCL C
    .language_version:
      - 2
      - 0
    .max_flat_workgroup_size: 256
    .name:           _ZN7rocprim17ROCPRIM_400000_NS6detail17trampoline_kernelINS0_14default_configENS1_29reduce_by_key_config_selectorIiiN6thrust23THRUST_200600_302600_NS4plusIiEEEEZZNS1_33reduce_by_key_impl_wrapped_configILNS1_25lookback_scan_determinismE0ES3_S9_NS6_18transform_iteratorI25linear_index_to_row_indexIiENS6_17counting_iteratorIiNS6_11use_defaultESG_SG_EESG_SG_EENS6_6detail15normal_iteratorINS6_10device_ptrIiEEEESN_SN_PmS8_NS6_8equal_toIiEEEE10hipError_tPvRmT2_T3_mT4_T5_T6_T7_T8_P12ihipStream_tbENKUlT_T0_E_clISt17integral_constantIbLb0EES17_IbLb1EEEEDaS13_S14_EUlS13_E_NS1_11comp_targetILNS1_3genE4ELNS1_11target_archE910ELNS1_3gpuE8ELNS1_3repE0EEENS1_30default_config_static_selectorELNS0_4arch9wavefront6targetE0EEEvT1_
    .private_segment_fixed_size: 0
    .sgpr_count:     0
    .sgpr_spill_count: 0
    .symbol:         _ZN7rocprim17ROCPRIM_400000_NS6detail17trampoline_kernelINS0_14default_configENS1_29reduce_by_key_config_selectorIiiN6thrust23THRUST_200600_302600_NS4plusIiEEEEZZNS1_33reduce_by_key_impl_wrapped_configILNS1_25lookback_scan_determinismE0ES3_S9_NS6_18transform_iteratorI25linear_index_to_row_indexIiENS6_17counting_iteratorIiNS6_11use_defaultESG_SG_EESG_SG_EENS6_6detail15normal_iteratorINS6_10device_ptrIiEEEESN_SN_PmS8_NS6_8equal_toIiEEEE10hipError_tPvRmT2_T3_mT4_T5_T6_T7_T8_P12ihipStream_tbENKUlT_T0_E_clISt17integral_constantIbLb0EES17_IbLb1EEEEDaS13_S14_EUlS13_E_NS1_11comp_targetILNS1_3genE4ELNS1_11target_archE910ELNS1_3gpuE8ELNS1_3repE0EEENS1_30default_config_static_selectorELNS0_4arch9wavefront6targetE0EEEvT1_.kd
    .uniform_work_group_size: 1
    .uses_dynamic_stack: false
    .vgpr_count:     0
    .vgpr_spill_count: 0
    .wavefront_size: 32
    .workgroup_processor_mode: 1
  - .args:
      - .offset:         0
        .size:           120
        .value_kind:     by_value
    .group_segment_fixed_size: 0
    .kernarg_segment_align: 8
    .kernarg_segment_size: 120
    .language:       OpenCL C
    .language_version:
      - 2
      - 0
    .max_flat_workgroup_size: 256
    .name:           _ZN7rocprim17ROCPRIM_400000_NS6detail17trampoline_kernelINS0_14default_configENS1_29reduce_by_key_config_selectorIiiN6thrust23THRUST_200600_302600_NS4plusIiEEEEZZNS1_33reduce_by_key_impl_wrapped_configILNS1_25lookback_scan_determinismE0ES3_S9_NS6_18transform_iteratorI25linear_index_to_row_indexIiENS6_17counting_iteratorIiNS6_11use_defaultESG_SG_EESG_SG_EENS6_6detail15normal_iteratorINS6_10device_ptrIiEEEESN_SN_PmS8_NS6_8equal_toIiEEEE10hipError_tPvRmT2_T3_mT4_T5_T6_T7_T8_P12ihipStream_tbENKUlT_T0_E_clISt17integral_constantIbLb0EES17_IbLb1EEEEDaS13_S14_EUlS13_E_NS1_11comp_targetILNS1_3genE3ELNS1_11target_archE908ELNS1_3gpuE7ELNS1_3repE0EEENS1_30default_config_static_selectorELNS0_4arch9wavefront6targetE0EEEvT1_
    .private_segment_fixed_size: 0
    .sgpr_count:     0
    .sgpr_spill_count: 0
    .symbol:         _ZN7rocprim17ROCPRIM_400000_NS6detail17trampoline_kernelINS0_14default_configENS1_29reduce_by_key_config_selectorIiiN6thrust23THRUST_200600_302600_NS4plusIiEEEEZZNS1_33reduce_by_key_impl_wrapped_configILNS1_25lookback_scan_determinismE0ES3_S9_NS6_18transform_iteratorI25linear_index_to_row_indexIiENS6_17counting_iteratorIiNS6_11use_defaultESG_SG_EESG_SG_EENS6_6detail15normal_iteratorINS6_10device_ptrIiEEEESN_SN_PmS8_NS6_8equal_toIiEEEE10hipError_tPvRmT2_T3_mT4_T5_T6_T7_T8_P12ihipStream_tbENKUlT_T0_E_clISt17integral_constantIbLb0EES17_IbLb1EEEEDaS13_S14_EUlS13_E_NS1_11comp_targetILNS1_3genE3ELNS1_11target_archE908ELNS1_3gpuE7ELNS1_3repE0EEENS1_30default_config_static_selectorELNS0_4arch9wavefront6targetE0EEEvT1_.kd
    .uniform_work_group_size: 1
    .uses_dynamic_stack: false
    .vgpr_count:     0
    .vgpr_spill_count: 0
    .wavefront_size: 32
    .workgroup_processor_mode: 1
  - .args:
      - .offset:         0
        .size:           120
        .value_kind:     by_value
    .group_segment_fixed_size: 0
    .kernarg_segment_align: 8
    .kernarg_segment_size: 120
    .language:       OpenCL C
    .language_version:
      - 2
      - 0
    .max_flat_workgroup_size: 256
    .name:           _ZN7rocprim17ROCPRIM_400000_NS6detail17trampoline_kernelINS0_14default_configENS1_29reduce_by_key_config_selectorIiiN6thrust23THRUST_200600_302600_NS4plusIiEEEEZZNS1_33reduce_by_key_impl_wrapped_configILNS1_25lookback_scan_determinismE0ES3_S9_NS6_18transform_iteratorI25linear_index_to_row_indexIiENS6_17counting_iteratorIiNS6_11use_defaultESG_SG_EESG_SG_EENS6_6detail15normal_iteratorINS6_10device_ptrIiEEEESN_SN_PmS8_NS6_8equal_toIiEEEE10hipError_tPvRmT2_T3_mT4_T5_T6_T7_T8_P12ihipStream_tbENKUlT_T0_E_clISt17integral_constantIbLb0EES17_IbLb1EEEEDaS13_S14_EUlS13_E_NS1_11comp_targetILNS1_3genE2ELNS1_11target_archE906ELNS1_3gpuE6ELNS1_3repE0EEENS1_30default_config_static_selectorELNS0_4arch9wavefront6targetE0EEEvT1_
    .private_segment_fixed_size: 0
    .sgpr_count:     0
    .sgpr_spill_count: 0
    .symbol:         _ZN7rocprim17ROCPRIM_400000_NS6detail17trampoline_kernelINS0_14default_configENS1_29reduce_by_key_config_selectorIiiN6thrust23THRUST_200600_302600_NS4plusIiEEEEZZNS1_33reduce_by_key_impl_wrapped_configILNS1_25lookback_scan_determinismE0ES3_S9_NS6_18transform_iteratorI25linear_index_to_row_indexIiENS6_17counting_iteratorIiNS6_11use_defaultESG_SG_EESG_SG_EENS6_6detail15normal_iteratorINS6_10device_ptrIiEEEESN_SN_PmS8_NS6_8equal_toIiEEEE10hipError_tPvRmT2_T3_mT4_T5_T6_T7_T8_P12ihipStream_tbENKUlT_T0_E_clISt17integral_constantIbLb0EES17_IbLb1EEEEDaS13_S14_EUlS13_E_NS1_11comp_targetILNS1_3genE2ELNS1_11target_archE906ELNS1_3gpuE6ELNS1_3repE0EEENS1_30default_config_static_selectorELNS0_4arch9wavefront6targetE0EEEvT1_.kd
    .uniform_work_group_size: 1
    .uses_dynamic_stack: false
    .vgpr_count:     0
    .vgpr_spill_count: 0
    .wavefront_size: 32
    .workgroup_processor_mode: 1
  - .args:
      - .offset:         0
        .size:           120
        .value_kind:     by_value
    .group_segment_fixed_size: 0
    .kernarg_segment_align: 8
    .kernarg_segment_size: 120
    .language:       OpenCL C
    .language_version:
      - 2
      - 0
    .max_flat_workgroup_size: 256
    .name:           _ZN7rocprim17ROCPRIM_400000_NS6detail17trampoline_kernelINS0_14default_configENS1_29reduce_by_key_config_selectorIiiN6thrust23THRUST_200600_302600_NS4plusIiEEEEZZNS1_33reduce_by_key_impl_wrapped_configILNS1_25lookback_scan_determinismE0ES3_S9_NS6_18transform_iteratorI25linear_index_to_row_indexIiENS6_17counting_iteratorIiNS6_11use_defaultESG_SG_EESG_SG_EENS6_6detail15normal_iteratorINS6_10device_ptrIiEEEESN_SN_PmS8_NS6_8equal_toIiEEEE10hipError_tPvRmT2_T3_mT4_T5_T6_T7_T8_P12ihipStream_tbENKUlT_T0_E_clISt17integral_constantIbLb0EES17_IbLb1EEEEDaS13_S14_EUlS13_E_NS1_11comp_targetILNS1_3genE10ELNS1_11target_archE1201ELNS1_3gpuE5ELNS1_3repE0EEENS1_30default_config_static_selectorELNS0_4arch9wavefront6targetE0EEEvT1_
    .private_segment_fixed_size: 0
    .sgpr_count:     0
    .sgpr_spill_count: 0
    .symbol:         _ZN7rocprim17ROCPRIM_400000_NS6detail17trampoline_kernelINS0_14default_configENS1_29reduce_by_key_config_selectorIiiN6thrust23THRUST_200600_302600_NS4plusIiEEEEZZNS1_33reduce_by_key_impl_wrapped_configILNS1_25lookback_scan_determinismE0ES3_S9_NS6_18transform_iteratorI25linear_index_to_row_indexIiENS6_17counting_iteratorIiNS6_11use_defaultESG_SG_EESG_SG_EENS6_6detail15normal_iteratorINS6_10device_ptrIiEEEESN_SN_PmS8_NS6_8equal_toIiEEEE10hipError_tPvRmT2_T3_mT4_T5_T6_T7_T8_P12ihipStream_tbENKUlT_T0_E_clISt17integral_constantIbLb0EES17_IbLb1EEEEDaS13_S14_EUlS13_E_NS1_11comp_targetILNS1_3genE10ELNS1_11target_archE1201ELNS1_3gpuE5ELNS1_3repE0EEENS1_30default_config_static_selectorELNS0_4arch9wavefront6targetE0EEEvT1_.kd
    .uniform_work_group_size: 1
    .uses_dynamic_stack: false
    .vgpr_count:     0
    .vgpr_spill_count: 0
    .wavefront_size: 32
    .workgroup_processor_mode: 1
  - .args:
      - .offset:         0
        .size:           120
        .value_kind:     by_value
    .group_segment_fixed_size: 0
    .kernarg_segment_align: 8
    .kernarg_segment_size: 120
    .language:       OpenCL C
    .language_version:
      - 2
      - 0
    .max_flat_workgroup_size: 256
    .name:           _ZN7rocprim17ROCPRIM_400000_NS6detail17trampoline_kernelINS0_14default_configENS1_29reduce_by_key_config_selectorIiiN6thrust23THRUST_200600_302600_NS4plusIiEEEEZZNS1_33reduce_by_key_impl_wrapped_configILNS1_25lookback_scan_determinismE0ES3_S9_NS6_18transform_iteratorI25linear_index_to_row_indexIiENS6_17counting_iteratorIiNS6_11use_defaultESG_SG_EESG_SG_EENS6_6detail15normal_iteratorINS6_10device_ptrIiEEEESN_SN_PmS8_NS6_8equal_toIiEEEE10hipError_tPvRmT2_T3_mT4_T5_T6_T7_T8_P12ihipStream_tbENKUlT_T0_E_clISt17integral_constantIbLb0EES17_IbLb1EEEEDaS13_S14_EUlS13_E_NS1_11comp_targetILNS1_3genE10ELNS1_11target_archE1200ELNS1_3gpuE4ELNS1_3repE0EEENS1_30default_config_static_selectorELNS0_4arch9wavefront6targetE0EEEvT1_
    .private_segment_fixed_size: 0
    .sgpr_count:     0
    .sgpr_spill_count: 0
    .symbol:         _ZN7rocprim17ROCPRIM_400000_NS6detail17trampoline_kernelINS0_14default_configENS1_29reduce_by_key_config_selectorIiiN6thrust23THRUST_200600_302600_NS4plusIiEEEEZZNS1_33reduce_by_key_impl_wrapped_configILNS1_25lookback_scan_determinismE0ES3_S9_NS6_18transform_iteratorI25linear_index_to_row_indexIiENS6_17counting_iteratorIiNS6_11use_defaultESG_SG_EESG_SG_EENS6_6detail15normal_iteratorINS6_10device_ptrIiEEEESN_SN_PmS8_NS6_8equal_toIiEEEE10hipError_tPvRmT2_T3_mT4_T5_T6_T7_T8_P12ihipStream_tbENKUlT_T0_E_clISt17integral_constantIbLb0EES17_IbLb1EEEEDaS13_S14_EUlS13_E_NS1_11comp_targetILNS1_3genE10ELNS1_11target_archE1200ELNS1_3gpuE4ELNS1_3repE0EEENS1_30default_config_static_selectorELNS0_4arch9wavefront6targetE0EEEvT1_.kd
    .uniform_work_group_size: 1
    .uses_dynamic_stack: false
    .vgpr_count:     0
    .vgpr_spill_count: 0
    .wavefront_size: 32
    .workgroup_processor_mode: 1
  - .args:
      - .offset:         0
        .size:           120
        .value_kind:     by_value
    .group_segment_fixed_size: 0
    .kernarg_segment_align: 8
    .kernarg_segment_size: 120
    .language:       OpenCL C
    .language_version:
      - 2
      - 0
    .max_flat_workgroup_size: 256
    .name:           _ZN7rocprim17ROCPRIM_400000_NS6detail17trampoline_kernelINS0_14default_configENS1_29reduce_by_key_config_selectorIiiN6thrust23THRUST_200600_302600_NS4plusIiEEEEZZNS1_33reduce_by_key_impl_wrapped_configILNS1_25lookback_scan_determinismE0ES3_S9_NS6_18transform_iteratorI25linear_index_to_row_indexIiENS6_17counting_iteratorIiNS6_11use_defaultESG_SG_EESG_SG_EENS6_6detail15normal_iteratorINS6_10device_ptrIiEEEESN_SN_PmS8_NS6_8equal_toIiEEEE10hipError_tPvRmT2_T3_mT4_T5_T6_T7_T8_P12ihipStream_tbENKUlT_T0_E_clISt17integral_constantIbLb0EES17_IbLb1EEEEDaS13_S14_EUlS13_E_NS1_11comp_targetILNS1_3genE9ELNS1_11target_archE1100ELNS1_3gpuE3ELNS1_3repE0EEENS1_30default_config_static_selectorELNS0_4arch9wavefront6targetE0EEEvT1_
    .private_segment_fixed_size: 0
    .sgpr_count:     0
    .sgpr_spill_count: 0
    .symbol:         _ZN7rocprim17ROCPRIM_400000_NS6detail17trampoline_kernelINS0_14default_configENS1_29reduce_by_key_config_selectorIiiN6thrust23THRUST_200600_302600_NS4plusIiEEEEZZNS1_33reduce_by_key_impl_wrapped_configILNS1_25lookback_scan_determinismE0ES3_S9_NS6_18transform_iteratorI25linear_index_to_row_indexIiENS6_17counting_iteratorIiNS6_11use_defaultESG_SG_EESG_SG_EENS6_6detail15normal_iteratorINS6_10device_ptrIiEEEESN_SN_PmS8_NS6_8equal_toIiEEEE10hipError_tPvRmT2_T3_mT4_T5_T6_T7_T8_P12ihipStream_tbENKUlT_T0_E_clISt17integral_constantIbLb0EES17_IbLb1EEEEDaS13_S14_EUlS13_E_NS1_11comp_targetILNS1_3genE9ELNS1_11target_archE1100ELNS1_3gpuE3ELNS1_3repE0EEENS1_30default_config_static_selectorELNS0_4arch9wavefront6targetE0EEEvT1_.kd
    .uniform_work_group_size: 1
    .uses_dynamic_stack: false
    .vgpr_count:     0
    .vgpr_spill_count: 0
    .wavefront_size: 32
    .workgroup_processor_mode: 1
  - .args:
      - .offset:         0
        .size:           120
        .value_kind:     by_value
    .group_segment_fixed_size: 15360
    .kernarg_segment_align: 8
    .kernarg_segment_size: 120
    .language:       OpenCL C
    .language_version:
      - 2
      - 0
    .max_flat_workgroup_size: 256
    .name:           _ZN7rocprim17ROCPRIM_400000_NS6detail17trampoline_kernelINS0_14default_configENS1_29reduce_by_key_config_selectorIiiN6thrust23THRUST_200600_302600_NS4plusIiEEEEZZNS1_33reduce_by_key_impl_wrapped_configILNS1_25lookback_scan_determinismE0ES3_S9_NS6_18transform_iteratorI25linear_index_to_row_indexIiENS6_17counting_iteratorIiNS6_11use_defaultESG_SG_EESG_SG_EENS6_6detail15normal_iteratorINS6_10device_ptrIiEEEESN_SN_PmS8_NS6_8equal_toIiEEEE10hipError_tPvRmT2_T3_mT4_T5_T6_T7_T8_P12ihipStream_tbENKUlT_T0_E_clISt17integral_constantIbLb0EES17_IbLb1EEEEDaS13_S14_EUlS13_E_NS1_11comp_targetILNS1_3genE8ELNS1_11target_archE1030ELNS1_3gpuE2ELNS1_3repE0EEENS1_30default_config_static_selectorELNS0_4arch9wavefront6targetE0EEEvT1_
    .private_segment_fixed_size: 0
    .sgpr_count:     53
    .sgpr_spill_count: 0
    .symbol:         _ZN7rocprim17ROCPRIM_400000_NS6detail17trampoline_kernelINS0_14default_configENS1_29reduce_by_key_config_selectorIiiN6thrust23THRUST_200600_302600_NS4plusIiEEEEZZNS1_33reduce_by_key_impl_wrapped_configILNS1_25lookback_scan_determinismE0ES3_S9_NS6_18transform_iteratorI25linear_index_to_row_indexIiENS6_17counting_iteratorIiNS6_11use_defaultESG_SG_EESG_SG_EENS6_6detail15normal_iteratorINS6_10device_ptrIiEEEESN_SN_PmS8_NS6_8equal_toIiEEEE10hipError_tPvRmT2_T3_mT4_T5_T6_T7_T8_P12ihipStream_tbENKUlT_T0_E_clISt17integral_constantIbLb0EES17_IbLb1EEEEDaS13_S14_EUlS13_E_NS1_11comp_targetILNS1_3genE8ELNS1_11target_archE1030ELNS1_3gpuE2ELNS1_3repE0EEENS1_30default_config_static_selectorELNS0_4arch9wavefront6targetE0EEEvT1_.kd
    .uniform_work_group_size: 1
    .uses_dynamic_stack: false
    .vgpr_count:     87
    .vgpr_spill_count: 0
    .wavefront_size: 32
    .workgroup_processor_mode: 1
amdhsa.target:   amdgcn-amd-amdhsa--gfx1030
amdhsa.version:
  - 1
  - 2
...

	.end_amdgpu_metadata
